;; amdgpu-corpus repo=ROCm/rocFFT kind=compiled arch=gfx906 opt=O3
	.text
	.amdgcn_target "amdgcn-amd-amdhsa--gfx906"
	.amdhsa_code_object_version 6
	.protected	bluestein_single_back_len2025_dim1_sp_op_CI_CI ; -- Begin function bluestein_single_back_len2025_dim1_sp_op_CI_CI
	.globl	bluestein_single_back_len2025_dim1_sp_op_CI_CI
	.p2align	8
	.type	bluestein_single_back_len2025_dim1_sp_op_CI_CI,@function
bluestein_single_back_len2025_dim1_sp_op_CI_CI: ; @bluestein_single_back_len2025_dim1_sp_op_CI_CI
; %bb.0:
	s_load_dwordx4 s[16:19], s[4:5], 0x28
	v_mul_u32_u24_e32 v1, 0x1e6, v0
	v_add_u32_sdwa v128, s6, v1 dst_sel:DWORD dst_unused:UNUSED_PAD src0_sel:DWORD src1_sel:WORD_1
	v_mov_b32_e32 v129, 0
	s_waitcnt lgkmcnt(0)
	v_cmp_gt_u64_e32 vcc, s[16:17], v[128:129]
	s_and_saveexec_b64 s[0:1], vcc
	s_cbranch_execz .LBB0_2
; %bb.1:
	s_load_dwordx4 s[0:3], s[4:5], 0x18
	s_load_dwordx4 s[8:11], s[4:5], 0x0
	s_movk_i32 s7, 0x87
	v_mul_lo_u16_sdwa v1, v1, s7 dst_sel:DWORD dst_unused:UNUSED_PAD src0_sel:WORD_1 src1_sel:DWORD
	v_sub_u16_e32 v142, v0, v1
	s_waitcnt lgkmcnt(0)
	s_load_dwordx4 s[12:15], s[0:1], 0x0
	v_lshlrev_b32_e32 v141, 3, v142
	s_movk_i32 s6, 0x1000
	global_load_dwordx2 v[133:134], v141, s[8:9]
	v_add_u32_e32 v146, 0x1800, v141
	s_waitcnt lgkmcnt(0)
	v_mad_u64_u32 v[0:1], s[0:1], s14, v128, 0
	v_mad_u64_u32 v[2:3], s[0:1], s12, v142, 0
	s_movk_i32 s14, 0x2000
	v_add_u32_e32 v149, 0x2c00, v141
	v_mad_u64_u32 v[4:5], s[0:1], s15, v128, v[1:2]
	v_add_u32_e32 v145, 0x800, v141
	v_add_u32_e32 v143, 0x2000, v141
	v_mad_u64_u32 v[5:6], s[0:1], s13, v142, v[3:4]
	v_mov_b32_e32 v1, v4
	v_lshlrev_b64 v[0:1], 3, v[0:1]
	v_mov_b32_e32 v6, s19
	v_mov_b32_e32 v3, v5
	v_add_co_u32_e32 v4, vcc, s18, v0
	v_addc_co_u32_e32 v5, vcc, v6, v1, vcc
	v_lshlrev_b64 v[0:1], 3, v[2:3]
	s_mul_i32 s0, s13, 0x1518
	v_add_co_u32_e32 v0, vcc, v4, v0
	v_addc_co_u32_e32 v1, vcc, v5, v1, vcc
	v_mov_b32_e32 v4, s9
	v_add_co_u32_e32 v151, vcc, s8, v141
	s_mul_hi_u32 s1, s12, 0x1518
	v_addc_co_u32_e32 v152, vcc, 0, v4, vcc
	s_add_i32 s0, s1, s0
	s_mul_i32 s1, s12, 0x1518
	global_load_dwordx2 v[2:3], v[0:1], off
	v_mov_b32_e32 v4, s0
	v_add_co_u32_e32 v0, vcc, s1, v0
	v_addc_co_u32_e32 v1, vcc, v1, v4, vcc
	v_add_co_u32_e32 v6, vcc, s6, v151
	v_addc_co_u32_e32 v7, vcc, 0, v152, vcc
	global_load_dwordx2 v[4:5], v[0:1], off
	v_mov_b32_e32 v8, s0
	v_add_co_u32_e32 v0, vcc, s1, v0
	v_addc_co_u32_e32 v1, vcc, v1, v8, vcc
	v_add_co_u32_e32 v10, vcc, s14, v151
	s_mul_hi_u32 s14, s12, 0xffffda08
	s_mulk_i32 s13, 0xda08
	s_sub_i32 s14, s14, s12
	v_addc_co_u32_e32 v11, vcc, 0, v152, vcc
	s_add_i32 s13, s14, s13
	s_mulk_i32 s12, 0xda08
	global_load_dwordx2 v[8:9], v[0:1], off
	v_mov_b32_e32 v12, s13
	v_add_co_u32_e32 v0, vcc, s12, v0
	v_addc_co_u32_e32 v1, vcc, v1, v12, vcc
	v_mov_b32_e32 v13, s0
	v_add_co_u32_e32 v12, vcc, s1, v0
	v_addc_co_u32_e32 v13, vcc, v1, v13, vcc
	global_load_dwordx2 v[129:130], v[6:7], off offset:1304
	global_load_dwordx2 v[14:15], v[0:1], off
	global_load_dwordx2 v[16:17], v[12:13], off
	v_mov_b32_e32 v1, s0
	v_add_co_u32_e32 v0, vcc, s1, v12
	v_addc_co_u32_e32 v1, vcc, v13, v1, vcc
	global_load_dwordx2 v[12:13], v[0:1], off
	global_load_dwordx2 v[137:138], v[10:11], off offset:2608
	global_load_dwordx2 v[126:127], v[10:11], off offset:3688
	v_mov_b32_e32 v18, s13
	v_add_co_u32_e32 v0, vcc, s12, v0
	v_addc_co_u32_e32 v1, vcc, v1, v18, vcc
	global_load_dwordx2 v[18:19], v[0:1], off
	global_load_dwordx2 v[135:136], v141, s[8:9] offset:1080
	global_load_dwordx2 v[124:125], v141, s[8:9] offset:2160
	v_mov_b32_e32 v20, s0
	v_add_co_u32_e32 v0, vcc, s1, v0
	v_addc_co_u32_e32 v1, vcc, v1, v20, vcc
	global_load_dwordx2 v[20:21], v[0:1], off
	global_load_dwordx2 v[131:132], v[6:7], off offset:2384
	global_load_dwordx2 v[122:123], v[6:7], off offset:3464
	v_mov_b32_e32 v22, s0
	v_add_co_u32_e32 v0, vcc, s1, v0
	v_addc_co_u32_e32 v1, vcc, v1, v22, vcc
	s_movk_i32 s14, 0x3000
	v_add_co_u32_e32 v139, vcc, s14, v151
	v_addc_co_u32_e32 v140, vcc, 0, v152, vcc
	global_load_dwordx2 v[22:23], v[0:1], off
	v_mov_b32_e32 v24, s13
	v_add_co_u32_e32 v0, vcc, s12, v0
	v_addc_co_u32_e32 v1, vcc, v1, v24, vcc
	global_load_dwordx2 v[120:121], v[139:140], off offset:672
	global_load_dwordx2 v[24:25], v[0:1], off
	global_load_dwordx2 v[118:119], v141, s[8:9] offset:3240
	v_mov_b32_e32 v26, s0
	v_add_co_u32_e32 v0, vcc, s1, v0
	v_addc_co_u32_e32 v1, vcc, v1, v26, vcc
	global_load_dwordx2 v[26:27], v[0:1], off
	global_load_dwordx2 v[116:117], v[10:11], off offset:448
	v_mov_b32_e32 v28, s0
	v_add_co_u32_e32 v0, vcc, s1, v0
	v_addc_co_u32_e32 v1, vcc, v1, v28, vcc
	global_load_dwordx2 v[28:29], v[0:1], off
	global_load_dwordx2 v[114:115], v[139:140], off offset:1752
	;; [unrolled: 5-line block ×5, first 2 shown]
	s_waitcnt vmcnt(28)
	v_mul_f32_e32 v0, v3, v134
	v_mul_f32_e32 v1, v2, v134
	v_fmac_f32_e32 v0, v2, v133
	v_fma_f32 v1, v3, v133, -v1
	v_add_u32_e32 v150, 0x3400, v141
	v_add_u32_e32 v148, 0x1000, v141
	s_load_dwordx4 s[0:3], s[2:3], 0x0
	v_add_u32_e32 v147, 0x2800, v141
	v_add_u32_e32 v144, 0x3000, v141
	v_mov_b32_e32 v53, s11
	s_movk_i32 s12, 0x5a
	s_load_dwordx2 s[4:5], s[4:5], 0x38
	s_waitcnt vmcnt(25)
	v_mul_f32_e32 v2, v5, v130
	v_mul_f32_e32 v3, v4, v130
	v_fmac_f32_e32 v2, v4, v129
	v_fma_f32 v3, v5, v129, -v3
	ds_write_b64 v141, v[2:3] offset:5400
	s_waitcnt vmcnt(21)
	v_mul_f32_e32 v2, v9, v138
	v_mul_f32_e32 v3, v8, v138
	v_fmac_f32_e32 v2, v8, v137
	v_fma_f32 v3, v9, v137, -v3
	ds_write_b64 v141, v[2:3] offset:10800
	s_waitcnt vmcnt(18)
	v_mul_f32_e32 v2, v15, v136
	v_mul_f32_e32 v3, v14, v136
	v_fmac_f32_e32 v2, v14, v135
	v_fma_f32 v3, v15, v135, -v3
	ds_write2_b64 v141, v[0:1], v[2:3] offset1:135
	v_mul_f32_e32 v2, v13, v127
	s_waitcnt vmcnt(15)
	v_mul_f32_e32 v0, v17, v132
	v_mul_f32_e32 v1, v16, v132
	s_waitcnt vmcnt(14)
	v_mul_f32_e32 v8, v21, v123
	v_mul_f32_e32 v9, v20, v123
	v_fmac_f32_e32 v0, v16, v131
	v_fma_f32 v1, v17, v131, -v1
	v_fmac_f32_e32 v8, v20, v122
	v_fma_f32 v9, v21, v122, -v9
	v_mul_f32_e32 v3, v12, v127
	ds_write2_b64 v146, v[0:1], v[8:9] offset0:42 offset1:177
	v_fmac_f32_e32 v2, v12, v126
	v_fma_f32 v3, v13, v126, -v3
	v_mul_f32_e32 v4, v19, v125
	v_mul_f32_e32 v5, v18, v125
	v_fmac_f32_e32 v4, v18, v124
	v_fma_f32 v5, v19, v124, -v5
	s_waitcnt vmcnt(12)
	v_mul_f32_e32 v0, v23, v121
	v_mul_f32_e32 v1, v22, v121
	v_fmac_f32_e32 v0, v22, v120
	v_fma_f32 v1, v23, v120, -v1
	ds_write2_b64 v149, v[2:3], v[0:1] offset0:77 offset1:212
	s_waitcnt vmcnt(10)
	v_mul_f32_e32 v0, v25, v119
	v_mul_f32_e32 v1, v24, v119
	v_fmac_f32_e32 v0, v24, v118
	v_fma_f32 v1, v25, v118, -v1
	ds_write2_b64 v145, v[4:5], v[0:1] offset0:14 offset1:149
	s_waitcnt vmcnt(8)
	v_mul_f32_e32 v0, v27, v117
	v_mul_f32_e32 v1, v26, v117
	v_fmac_f32_e32 v0, v26, v116
	v_fma_f32 v1, v27, v116, -v1
	s_waitcnt vmcnt(6)
	v_mul_f32_e32 v2, v29, v115
	v_mul_f32_e32 v3, v28, v115
	v_fmac_f32_e32 v2, v28, v114
	v_fma_f32 v3, v29, v114, -v3
	;; [unrolled: 5-line block ×3, first 2 shown]
	ds_write_b64 v141, v[4:5] offset:4320
	s_waitcnt vmcnt(2)
	v_mul_f32_e32 v4, v7, v111
	v_mul_f32_e32 v5, v6, v111
	v_fmac_f32_e32 v4, v6, v110
	v_fma_f32 v5, v7, v110, -v5
	ds_write2_b64 v143, v[0:1], v[4:5] offset0:56 offset1:191
	s_waitcnt vmcnt(0)
	v_mul_f32_e32 v0, v11, v109
	v_mul_f32_e32 v1, v10, v109
	v_fmac_f32_e32 v0, v10, v108
	v_fma_f32 v1, v11, v108, -v1
	ds_write2_b64 v150, v[2:3], v[0:1] offset0:91 offset1:226
	s_waitcnt lgkmcnt(0)
	s_barrier
	ds_read2_b64 v[4:7], v141 offset1:135
	ds_read2_b64 v[0:3], v148 offset0:28 offset1:163
	ds_read2_b64 v[23:26], v147 offset0:70 offset1:205
	;; [unrolled: 1-line block ×5, first 2 shown]
	ds_read_b64 v[20:21], v141 offset:15120
	s_waitcnt lgkmcnt(5)
	v_add_f32_e32 v22, v4, v2
	s_waitcnt lgkmcnt(4)
	v_add_f32_e32 v27, v22, v23
	v_add_f32_e32 v22, v2, v23
	v_fma_f32 v29, -0.5, v22, v4
	v_sub_f32_e32 v31, v3, v24
	v_add_f32_e32 v4, v5, v3
	v_add_f32_e32 v3, v3, v24
	v_fma_f32 v30, -0.5, v3, v5
	v_mov_b32_e32 v22, v29
	v_add_f32_e32 v28, v4, v24
	v_sub_f32_e32 v32, v2, v23
	v_mov_b32_e32 v23, v30
	v_mul_lo_u16_e32 v24, 3, v142
	v_fmac_f32_e32 v22, 0x3f5db3d7, v31
	v_fmac_f32_e32 v23, 0xbf5db3d7, v32
	ds_read2_b64 v[2:5], v143 offset0:56 offset1:191
	v_lshlrev_b32_e32 v153, 3, v24
	s_waitcnt lgkmcnt(0)
	s_barrier
	ds_write2_b64 v153, v[27:28], v[22:23] offset1:1
	v_add_f32_e32 v23, v7, v17
	v_add_f32_e32 v27, v16, v25
	v_sub_f32_e32 v24, v17, v26
	v_add_f32_e32 v17, v17, v26
	v_add_f32_e32 v22, v6, v16
	v_fma_f32 v6, -0.5, v27, v6
	v_fmac_f32_e32 v7, -0.5, v17
	v_add_co_u32_e32 v28, vcc, s7, v142
	v_add_f32_e32 v22, v22, v25
	v_sub_f32_e32 v25, v16, v25
	v_mov_b32_e32 v16, v6
	v_mov_b32_e32 v17, v7
	v_mul_u32_u24_e32 v27, 3, v28
	v_add_f32_e32 v23, v23, v26
	v_fmac_f32_e32 v29, 0xbf5db3d7, v31
	v_fmac_f32_e32 v30, 0x3f5db3d7, v32
	;; [unrolled: 1-line block ×4, first 2 shown]
	v_lshlrev_b32_e32 v171, 3, v27
	ds_write_b64 v153, v[29:30] offset:16
	ds_write2_b64 v171, v[22:23], v[16:17] offset1:1
	v_add_f32_e32 v16, v8, v18
	v_add_f32_e32 v27, v2, v14
	;; [unrolled: 1-line block ×4, first 2 shown]
	v_sub_f32_e32 v18, v18, v12
	v_add_f32_e32 v12, v16, v12
	v_add_f32_e32 v16, v10, v2
	v_fma_f32 v10, -0.5, v27, v10
	v_sub_f32_e32 v23, v19, v13
	v_add_f32_e32 v19, v19, v13
	v_add_f32_e32 v13, v17, v13
	;; [unrolled: 1-line block ×4, first 2 shown]
	v_sub_f32_e32 v29, v3, v15
	v_sub_f32_e32 v30, v2, v14
	v_mov_b32_e32 v14, v10
	s_movk_i32 s7, 0x10e
	v_addc_co_u32_e64 v26, s[8:9], 0, 0, vcc
	v_add_f32_e32 v17, v17, v15
	v_add_f32_e32 v15, v3, v15
	;; [unrolled: 1-line block ×4, first 2 shown]
	v_sub_f32_e32 v32, v5, v21
	v_add_f32_e32 v3, v1, v5
	v_add_f32_e32 v33, v5, v21
	v_sub_f32_e32 v34, v4, v20
	v_fmac_f32_e32 v6, 0xbf5db3d7, v24
	v_fmac_f32_e32 v7, 0x3f5db3d7, v25
	v_fma_f32 v4, -0.5, v22, v8
	v_fma_f32 v5, -0.5, v19, v9
	v_fmac_f32_e32 v14, 0x3f5db3d7, v29
	v_fmac_f32_e32 v10, 0xbf5db3d7, v29
	v_add_co_u32_e32 v29, vcc, s7, v142
	v_mov_b32_e32 v8, v4
	v_mov_b32_e32 v9, v5
	s_movk_i32 s7, 0x195
	ds_write_b64 v171, v[6:7] offset:16
	v_mul_u32_u24_e32 v6, 3, v29
	v_fmac_f32_e32 v8, 0x3f5db3d7, v23
	v_fmac_f32_e32 v4, 0xbf5db3d7, v23
	;; [unrolled: 1-line block ×3, first 2 shown]
	v_add_co_u32_e32 v48, vcc, s7, v142
	s_movk_i32 s7, 0x21c
	v_lshlrev_b32_e32 v173, 3, v6
	v_fmac_f32_e32 v5, 0x3f5db3d7, v18
	v_fmac_f32_e32 v11, -0.5, v15
	v_fma_f32 v0, -0.5, v31, v0
	v_fmac_f32_e32 v1, -0.5, v33
	v_add_co_u32_e32 v52, vcc, s7, v142
	ds_write2_b64 v173, v[12:13], v[8:9] offset1:1
	ds_write_b64 v173, v[4:5] offset:16
	v_mul_u32_u24_e32 v4, 3, v48
	v_mov_b32_e32 v15, v11
	v_mov_b32_e32 v18, v0
	;; [unrolled: 1-line block ×3, first 2 shown]
	v_lshlrev_b32_e32 v172, 3, v4
	v_mul_u32_u24_e32 v4, 3, v52
	v_add_f32_e32 v2, v2, v20
	v_add_f32_e32 v3, v3, v21
	v_fmac_f32_e32 v15, 0xbf5db3d7, v30
	v_fmac_f32_e32 v18, 0x3f5db3d7, v32
	;; [unrolled: 1-line block ×4, first 2 shown]
	v_lshlrev_b32_e32 v170, 3, v4
	s_movk_i32 s7, 0xab
	v_fmac_f32_e32 v11, 0x3f5db3d7, v30
	v_fmac_f32_e32 v1, 0x3f5db3d7, v34
	ds_write2_b64 v172, v[16:17], v[14:15] offset1:1
	ds_write_b64 v172, v[10:11] offset:16
	ds_write2_b64 v170, v[2:3], v[18:19] offset1:1
	ds_write_b64 v170, v[0:1] offset:16
	v_mul_lo_u16_sdwa v0, v142, s7 dst_sel:DWORD dst_unused:UNUSED_PAD src0_sel:BYTE_0 src1_sel:DWORD
	v_lshrrev_b16_e32 v12, 9, v0
	s_mov_b32 s7, 0xaaab
	v_mul_lo_u16_e32 v0, 3, v12
	v_mul_u32_u24_sdwa v1, v28, s7 dst_sel:DWORD dst_unused:UNUSED_PAD src0_sel:WORD_0 src1_sel:DWORD
	v_sub_u16_e32 v0, v142, v0
	v_lshrrev_b32_e32 v16, 17, v1
	v_and_b32_e32 v13, 0xff, v0
	v_mul_lo_u16_e32 v1, 3, v16
	v_lshlrev_b32_e32 v0, 4, v13
	v_sub_u16_e32 v17, v28, v1
	s_waitcnt lgkmcnt(0)
	s_barrier
	global_load_dwordx4 v[88:91], v0, s[10:11]
	v_lshlrev_b16_e32 v0, 1, v17
	v_lshlrev_b32_e32 v0, 3, v0
	global_load_dwordx4 v[92:95], v0, s[10:11]
	v_mul_u32_u24_sdwa v0, v29, s7 dst_sel:DWORD dst_unused:UNUSED_PAD src0_sel:WORD_0 src1_sel:DWORD
	v_lshrrev_b32_e32 v18, 17, v0
	v_mul_lo_u16_e32 v0, 3, v18
	v_sub_u16_e32 v19, v29, v0
	v_lshlrev_b16_e32 v0, 1, v19
	v_lshlrev_b32_e32 v0, 3, v0
	global_load_dwordx4 v[96:99], v0, s[10:11]
	v_mul_u32_u24_sdwa v0, v48, s7 dst_sel:DWORD dst_unused:UNUSED_PAD src0_sel:WORD_0 src1_sel:DWORD
	v_lshrrev_b32_e32 v20, 17, v0
	v_mul_lo_u16_e32 v0, 3, v20
	v_sub_u16_e32 v21, v48, v0
	;; [unrolled: 7-line block ×3, first 2 shown]
	v_lshlrev_b16_e32 v0, 1, v23
	v_lshlrev_b32_e32 v0, 3, v0
	global_load_dwordx4 v[104:107], v0, s[10:11]
	ds_read2_b64 v[0:3], v147 offset0:70 offset1:205
	ds_read2_b64 v[4:7], v146 offset0:42 offset1:177
	v_mad_legacy_u16 v16, v16, 9, v17
	v_lshlrev_b32_e32 v169, 3, v16
	s_mov_b32 s7, 0xe38f
	s_waitcnt vmcnt(4) lgkmcnt(1)
	v_mul_f32_e32 v8, v1, v91
	v_fma_f32 v14, v0, v90, -v8
	v_mul_f32_e32 v10, v0, v91
	s_waitcnt vmcnt(3)
	v_mul_f32_e32 v0, v3, v95
	v_fma_f32 v24, v2, v94, -v0
	v_mul_f32_e32 v25, v2, v95
	s_waitcnt lgkmcnt(0)
	v_mul_f32_e32 v0, v5, v93
	v_fmac_f32_e32 v10, v1, v90
	v_fmac_f32_e32 v25, v3, v94
	v_fma_f32 v27, v4, v92, -v0
	ds_read2_b64 v[0:3], v144 offset0:84 offset1:219
	v_mul_f32_e32 v30, v4, v93
	s_waitcnt vmcnt(2)
	v_mul_f32_e32 v4, v7, v97
	v_fma_f32 v31, v6, v96, -v4
	v_mul_f32_e32 v32, v6, v97
	s_waitcnt lgkmcnt(0)
	v_mul_f32_e32 v4, v1, v99
	v_fmac_f32_e32 v30, v5, v92
	v_fmac_f32_e32 v32, v7, v96
	v_fma_f32 v33, v0, v98, -v4
	ds_read2_b64 v[4:7], v143 offset0:56 offset1:191
	;; [unrolled: 11-line block ×3, first 2 shown]
	v_mul_f32_e32 v38, v4, v101
	s_waitcnt vmcnt(0)
	v_mul_f32_e32 v4, v7, v105
	v_mul_f32_e32 v40, v6, v105
	v_fmac_f32_e32 v38, v5, v100
	v_fma_f32 v39, v6, v104, -v4
	v_fmac_f32_e32 v40, v7, v104
	ds_read2_b64 v[4:7], v141 offset1:135
	s_waitcnt lgkmcnt(1)
	v_mul_f32_e32 v8, v3, v89
	v_fma_f32 v15, v2, v88, -v8
	v_mul_f32_e32 v2, v2, v89
	v_fmac_f32_e32 v2, v3, v88
	s_waitcnt lgkmcnt(0)
	v_add_f32_e32 v3, v4, v15
	v_add_f32_e32 v8, v3, v14
	;; [unrolled: 1-line block ×4, first 2 shown]
	v_sub_f32_e32 v41, v2, v10
	v_add_f32_e32 v2, v2, v10
	v_add_f32_e32 v3, v15, v14
	v_fma_f32 v10, -0.5, v3, v4
	v_fma_f32 v11, -0.5, v2, v5
	v_mul_u32_u24_e32 v2, 9, v12
	v_sub_f32_e32 v42, v15, v14
	v_add_lshl_u32 v167, v2, v13, 3
	v_mov_b32_e32 v12, v10
	v_mov_b32_e32 v13, v11
	v_fmac_f32_e32 v12, 0x3f5db3d7, v41
	v_fmac_f32_e32 v13, 0xbf5db3d7, v42
	;; [unrolled: 1-line block ×4, first 2 shown]
	ds_read_b64 v[14:15], v141 offset:15120
	ds_read2_b64 v[2:5], v145 offset0:14 offset1:149
	s_waitcnt lgkmcnt(0)
	s_barrier
	ds_write2_b64 v167, v[8:9], v[12:13] offset1:3
	ds_write_b64 v167, v[10:11] offset:48
	v_add_f32_e32 v9, v27, v24
	v_add_f32_e32 v10, v30, v25
	;; [unrolled: 1-line block ×3, first 2 shown]
	v_fma_f32 v6, -0.5, v9, v6
	v_add_f32_e32 v9, v7, v30
	v_fmac_f32_e32 v7, -0.5, v10
	v_sub_f32_e32 v12, v30, v25
	v_sub_f32_e32 v13, v27, v24
	v_mov_b32_e32 v10, v6
	v_mov_b32_e32 v11, v7
	v_add_f32_e32 v8, v8, v24
	v_add_f32_e32 v9, v9, v25
	v_fmac_f32_e32 v10, 0x3f5db3d7, v12
	v_fmac_f32_e32 v11, 0xbf5db3d7, v13
	ds_write2_b64 v169, v[8:9], v[10:11] offset1:3
	v_fmac_f32_e32 v6, 0xbf5db3d7, v12
	v_fmac_f32_e32 v7, 0x3f5db3d7, v13
	v_add_f32_e32 v8, v32, v34
	v_add_f32_e32 v9, v31, v33
	ds_write_b64 v169, v[6:7] offset:48
	v_add_f32_e32 v6, v2, v31
	v_add_f32_e32 v7, v3, v32
	v_fma_f32 v2, -0.5, v9, v2
	v_fma_f32 v3, -0.5, v8, v3
	v_sub_f32_e32 v10, v32, v34
	v_sub_f32_e32 v11, v31, v33
	v_mad_legacy_u16 v12, v18, 9, v19
	v_mov_b32_e32 v8, v2
	v_mov_b32_e32 v9, v3
	v_add_f32_e32 v6, v6, v33
	v_add_f32_e32 v7, v7, v34
	v_fmac_f32_e32 v8, 0x3f5db3d7, v10
	v_fmac_f32_e32 v9, 0xbf5db3d7, v11
	v_lshlrev_b32_e32 v168, 3, v12
	v_fmac_f32_e32 v2, 0xbf5db3d7, v10
	v_fmac_f32_e32 v3, 0x3f5db3d7, v11
	ds_write2_b64 v168, v[6:7], v[8:9] offset1:3
	ds_write_b64 v168, v[2:3] offset:48
	v_add_f32_e32 v3, v37, v35
	v_add_f32_e32 v6, v38, v36
	;; [unrolled: 1-line block ×3, first 2 shown]
	v_fma_f32 v4, -0.5, v3, v4
	v_add_f32_e32 v3, v5, v38
	v_fmac_f32_e32 v5, -0.5, v6
	v_sub_f32_e32 v8, v38, v36
	v_sub_f32_e32 v9, v37, v35
	v_mad_legacy_u16 v10, v20, 9, v21
	v_mov_b32_e32 v6, v4
	v_mov_b32_e32 v7, v5
	v_add_f32_e32 v2, v2, v35
	v_add_f32_e32 v3, v3, v36
	v_fmac_f32_e32 v6, 0x3f5db3d7, v8
	v_fmac_f32_e32 v7, 0xbf5db3d7, v9
	v_lshlrev_b32_e32 v165, 3, v10
	ds_write2_b64 v165, v[2:3], v[6:7] offset1:3
	v_fmac_f32_e32 v4, 0xbf5db3d7, v8
	v_fmac_f32_e32 v5, 0x3f5db3d7, v9
	v_mul_f32_e32 v2, v15, v107
	ds_write_b64 v165, v[4:5] offset:48
	v_fma_f32 v4, v14, v106, -v2
	v_mul_f32_e32 v5, v14, v107
	v_add_f32_e32 v3, v39, v4
	v_fmac_f32_e32 v5, v15, v106
	v_add_f32_e32 v2, v0, v39
	v_fma_f32 v0, -0.5, v3, v0
	v_add_f32_e32 v3, v1, v40
	v_add_f32_e32 v3, v3, v5
	v_sub_f32_e32 v6, v40, v5
	v_add_f32_e32 v5, v40, v5
	v_fmac_f32_e32 v1, -0.5, v5
	v_sub_f32_e32 v7, v39, v4
	v_mad_legacy_u16 v8, v22, 9, v23
	v_add_f32_e32 v2, v2, v4
	v_mov_b32_e32 v4, v0
	v_mov_b32_e32 v5, v1
	v_lshlrev_b32_e32 v166, 3, v8
	v_fmac_f32_e32 v0, 0xbf5db3d7, v6
	v_fmac_f32_e32 v1, 0x3f5db3d7, v7
	ds_write_b64 v166, v[0:1] offset:48
	v_mov_b32_e32 v0, 57
	v_mul_lo_u16_sdwa v0, v142, v0 dst_sel:DWORD dst_unused:UNUSED_PAD src0_sel:BYTE_0 src1_sel:DWORD
	v_lshrrev_b16_e32 v12, 9, v0
	v_mul_lo_u16_e32 v0, 9, v12
	v_sub_u16_e32 v0, v142, v0
	v_fmac_f32_e32 v4, 0x3f5db3d7, v6
	v_fmac_f32_e32 v5, 0xbf5db3d7, v7
	v_and_b32_e32 v13, 0xff, v0
	ds_write2_b64 v166, v[2:3], v[4:5] offset1:3
	v_lshlrev_b32_e32 v2, 5, v13
	s_waitcnt lgkmcnt(0)
	s_barrier
	global_load_dwordx4 v[64:67], v2, s[10:11] offset:48
	v_mul_u32_u24_sdwa v0, v28, s7 dst_sel:DWORD dst_unused:UNUSED_PAD src0_sel:WORD_0 src1_sel:DWORD
	v_lshrrev_b32_e32 v24, 19, v0
	v_mul_lo_u16_e32 v0, 9, v24
	v_sub_u16_e32 v25, v28, v0
	v_lshlrev_b16_e32 v0, 5, v25
	v_add_co_u32_e32 v0, vcc, s10, v0
	v_addc_co_u32_e32 v1, vcc, 0, v53, vcc
	global_load_dwordx4 v[68:71], v[0:1], off offset:48
	global_load_dwordx4 v[72:75], v2, s[10:11] offset:64
	global_load_dwordx4 v[76:79], v[0:1], off offset:64
	ds_read2_b64 v[0:3], v146 offset0:42 offset1:177
	ds_read2_b64 v[8:11], v143 offset0:56 offset1:191
	ds_read_b64 v[22:23], v141 offset:15120
	v_mad_legacy_u16 v24, v24, 45, v25
	v_lshlrev_b32_e32 v163, 3, v24
	s_waitcnt vmcnt(3) lgkmcnt(2)
	v_mul_f32_e32 v4, v1, v67
	v_fma_f32 v27, v0, v66, -v4
	ds_read2_b64 v[4:7], v144 offset0:84 offset1:219
	v_mul_f32_e32 v30, v0, v67
	v_fmac_f32_e32 v30, v1, v66
	s_waitcnt vmcnt(2)
	v_mul_f32_e32 v0, v3, v71
	v_fma_f32 v31, v2, v70, -v0
	v_mul_f32_e32 v32, v2, v71
	s_waitcnt vmcnt(1) lgkmcnt(0)
	v_mul_f32_e32 v0, v5, v75
	v_fmac_f32_e32 v32, v3, v70
	v_fma_f32 v33, v4, v74, -v0
	ds_read2_b64 v[0:3], v145 offset0:14 offset1:149
	v_mul_f32_e32 v34, v4, v75
	s_waitcnt vmcnt(0)
	v_mul_f32_e32 v4, v7, v79
	v_fma_f32 v35, v6, v78, -v4
	v_fmac_f32_e32 v34, v5, v74
	s_waitcnt lgkmcnt(0)
	v_mul_f32_e32 v4, v3, v65
	v_fma_f32 v37, v2, v64, -v4
	v_mul_f32_e32 v4, v11, v73
	v_fma_f32 v38, v10, v72, -v4
	v_mul_f32_e32 v36, v6, v79
	v_sub_f32_e32 v4, v37, v27
	v_sub_f32_e32 v5, v33, v38
	v_fmac_f32_e32 v36, v7, v78
	v_add_f32_e32 v39, v4, v5
	ds_read2_b64 v[4:7], v141 offset1:135
	v_mul_f32_e32 v41, v10, v73
	v_mul_f32_e32 v40, v2, v65
	v_fmac_f32_e32 v41, v11, v72
	v_add_f32_e32 v10, v27, v38
	v_fmac_f32_e32 v40, v3, v64
	s_waitcnt lgkmcnt(0)
	v_fma_f32 v18, -0.5, v10, v4
	v_add_f32_e32 v10, v30, v41
	v_fma_f32 v19, -0.5, v10, v5
	v_sub_f32_e32 v10, v40, v30
	v_sub_f32_e32 v11, v34, v41
	v_add_f32_e32 v42, v10, v11
	v_mul_u32_u24_e32 v10, 45, v12
	v_add_lshl_u32 v162, v10, v13, 3
	v_mul_u32_u24_sdwa v10, v29, s7 dst_sel:DWORD dst_unused:UNUSED_PAD src0_sel:WORD_0 src1_sel:DWORD
	v_lshrrev_b32_e32 v43, 19, v10
	v_mul_lo_u16_e32 v10, 9, v43
	v_sub_u16_e32 v44, v29, v10
	v_lshlrev_b16_e32 v10, 5, v44
	v_add_co_u32_e32 v10, vcc, s10, v10
	v_addc_co_u32_e32 v11, vcc, 0, v53, vcc
	global_load_dwordx4 v[84:87], v[10:11], off offset:64
	global_load_dwordx4 v[80:83], v[10:11], off offset:48
	v_add_f32_e32 v2, v4, v37
	v_add_f32_e32 v3, v5, v40
	v_sub_f32_e32 v45, v40, v34
	v_mov_b32_e32 v20, v18
	v_mov_b32_e32 v21, v19
	v_sub_f32_e32 v47, v37, v33
	v_add_f32_e32 v2, v2, v27
	v_add_f32_e32 v3, v3, v30
	v_fmac_f32_e32 v20, 0x3f737871, v45
	v_sub_f32_e32 v46, v30, v41
	v_fmac_f32_e32 v21, 0xbf737871, v47
	v_sub_f32_e32 v49, v27, v38
	v_add_f32_e32 v2, v2, v38
	v_add_f32_e32 v3, v3, v41
	v_fmac_f32_e32 v20, 0x3f167918, v46
	v_fmac_f32_e32 v21, 0xbf167918, v49
	v_add_f32_e32 v2, v2, v33
	v_add_f32_e32 v3, v3, v34
	v_fmac_f32_e32 v20, 0x3e9e377a, v39
	v_fmac_f32_e32 v21, 0x3e9e377a, v42
	ds_read2_b64 v[10:13], v148 offset0:28 offset1:163
	ds_read2_b64 v[14:17], v147 offset0:70 offset1:205
	s_waitcnt vmcnt(0) lgkmcnt(0)
	s_barrier
	ds_write2_b64 v162, v[2:3], v[20:21] offset1:9
	v_sub_f32_e32 v2, v27, v37
	v_add_f32_e32 v3, v37, v33
	v_sub_f32_e32 v20, v38, v33
	v_add_f32_e32 v20, v2, v20
	v_fma_f32 v2, -0.5, v3, v4
	v_mov_b32_e32 v4, v2
	v_fmac_f32_e32 v4, 0xbf737871, v46
	v_fmac_f32_e32 v2, 0x3f737871, v46
	;; [unrolled: 1-line block ×4, first 2 shown]
	v_add_f32_e32 v3, v40, v34
	v_fmac_f32_e32 v4, 0x3e9e377a, v20
	v_fmac_f32_e32 v2, 0x3e9e377a, v20
	v_fma_f32 v3, -0.5, v3, v5
	v_sub_f32_e32 v5, v30, v40
	v_sub_f32_e32 v20, v41, v34
	v_add_f32_e32 v20, v5, v20
	v_mov_b32_e32 v5, v3
	v_fmac_f32_e32 v5, 0x3f737871, v49
	v_fmac_f32_e32 v3, 0xbf737871, v49
	;; [unrolled: 1-line block ×10, first 2 shown]
	ds_write2_b64 v162, v[4:5], v[2:3] offset0:18 offset1:27
	v_fmac_f32_e32 v18, 0x3e9e377a, v39
	v_fmac_f32_e32 v19, 0x3e9e377a, v42
	v_mul_f32_e32 v2, v11, v69
	ds_write_b64 v162, v[18:19] offset:288
	v_fma_f32 v18, v10, v68, -v2
	v_mul_f32_e32 v2, v15, v77
	v_fma_f32 v19, v14, v76, -v2
	v_mul_f32_e32 v10, v10, v69
	v_add_f32_e32 v2, v31, v19
	v_add_f32_e32 v3, v18, v35
	v_fmac_f32_e32 v10, v11, v68
	v_mul_f32_e32 v11, v14, v77
	v_add_f32_e32 v20, v6, v18
	v_fma_f32 v2, -0.5, v2, v6
	v_fma_f32 v6, -0.5, v3, v6
	v_sub_f32_e32 v3, v31, v18
	v_sub_f32_e32 v4, v19, v35
	v_fmac_f32_e32 v11, v15, v76
	v_add_f32_e32 v3, v3, v4
	v_sub_f32_e32 v14, v32, v11
	v_mov_b32_e32 v4, v6
	v_fmac_f32_e32 v4, 0xbf737871, v14
	v_sub_f32_e32 v15, v10, v36
	v_fmac_f32_e32 v6, 0x3f737871, v14
	v_fmac_f32_e32 v4, 0x3f167918, v15
	;; [unrolled: 1-line block ×5, first 2 shown]
	v_add_f32_e32 v3, v32, v11
	v_add_f32_e32 v5, v10, v36
	v_fma_f32 v3, -0.5, v3, v7
	v_add_f32_e32 v21, v7, v10
	v_fmac_f32_e32 v7, -0.5, v5
	v_sub_f32_e32 v5, v32, v10
	v_sub_f32_e32 v27, v11, v36
	v_add_f32_e32 v27, v5, v27
	v_mov_b32_e32 v5, v7
	v_sub_f32_e32 v30, v31, v19
	v_fmac_f32_e32 v5, 0x3f737871, v30
	v_sub_f32_e32 v33, v18, v35
	v_fmac_f32_e32 v7, 0xbf737871, v30
	v_fmac_f32_e32 v5, 0xbf167918, v33
	;; [unrolled: 1-line block ×5, first 2 shown]
	ds_write2_b64 v163, v[4:5], v[6:7] offset0:18 offset1:27
	v_mul_f32_e32 v4, v13, v81
	v_fma_f32 v24, v12, v80, -v4
	v_mul_f32_e32 v12, v12, v81
	v_mul_f32_e32 v4, v9, v83
	v_fmac_f32_e32 v12, v13, v80
	v_fma_f32 v13, v8, v82, -v4
	v_mul_f32_e32 v8, v8, v83
	v_mul_f32_e32 v4, v17, v85
	v_fmac_f32_e32 v8, v9, v82
	v_fma_f32 v9, v16, v84, -v4
	v_mul_f32_e32 v16, v16, v85
	v_sub_f32_e32 v5, v18, v31
	v_sub_f32_e32 v6, v35, v19
	v_fmac_f32_e32 v16, v17, v84
	v_add_f32_e32 v17, v5, v6
	v_sub_f32_e32 v6, v10, v32
	v_sub_f32_e32 v7, v36, v11
	v_add_f32_e32 v10, v6, v7
	v_mov_b32_e32 v6, v2
	v_mov_b32_e32 v7, v3
	v_add_f32_e32 v4, v20, v31
	v_add_f32_e32 v5, v21, v32
	v_fmac_f32_e32 v6, 0x3f737871, v15
	v_fmac_f32_e32 v7, 0xbf737871, v33
	v_add_f32_e32 v4, v4, v19
	v_add_f32_e32 v5, v5, v11
	v_fmac_f32_e32 v6, 0x3f167918, v14
	v_fmac_f32_e32 v7, 0xbf167918, v30
	v_add_f32_e32 v4, v4, v35
	v_add_f32_e32 v5, v5, v36
	v_fmac_f32_e32 v6, 0x3e9e377a, v17
	v_fmac_f32_e32 v7, 0x3e9e377a, v10
	v_fmac_f32_e32 v2, 0xbf737871, v15
	v_fmac_f32_e32 v3, 0x3f737871, v33
	ds_write2_b64 v163, v[4:5], v[6:7] offset1:9
	v_mul_f32_e32 v4, v23, v87
	v_fmac_f32_e32 v2, 0xbf167918, v14
	v_fmac_f32_e32 v3, 0x3f167918, v30
	v_fma_f32 v6, v22, v86, -v4
	v_fmac_f32_e32 v2, 0x3e9e377a, v17
	v_fmac_f32_e32 v3, 0x3e9e377a, v10
	ds_write_b64 v163, v[2:3] offset:288
	v_add_f32_e32 v2, v13, v9
	v_add_f32_e32 v3, v24, v6
	v_mul_f32_e32 v7, v22, v87
	v_add_f32_e32 v10, v0, v24
	v_fma_f32 v2, -0.5, v2, v0
	v_fma_f32 v0, -0.5, v3, v0
	v_sub_f32_e32 v3, v13, v24
	v_sub_f32_e32 v4, v9, v6
	v_fmac_f32_e32 v7, v23, v86
	v_add_f32_e32 v3, v3, v4
	v_sub_f32_e32 v11, v8, v16
	v_mov_b32_e32 v4, v0
	v_fmac_f32_e32 v4, 0xbf737871, v11
	v_sub_f32_e32 v14, v12, v7
	v_fmac_f32_e32 v0, 0x3f737871, v11
	v_fmac_f32_e32 v4, 0x3f167918, v14
	;; [unrolled: 1-line block ×5, first 2 shown]
	v_add_f32_e32 v3, v8, v16
	v_add_f32_e32 v5, v12, v7
	v_fma_f32 v3, -0.5, v3, v1
	v_add_f32_e32 v15, v1, v12
	v_fmac_f32_e32 v1, -0.5, v5
	v_sub_f32_e32 v5, v8, v12
	v_sub_f32_e32 v17, v16, v7
	v_add_f32_e32 v17, v5, v17
	v_mov_b32_e32 v5, v1
	v_sub_f32_e32 v18, v13, v9
	v_fmac_f32_e32 v5, 0x3f737871, v18
	v_sub_f32_e32 v19, v24, v6
	v_fmac_f32_e32 v1, 0xbf737871, v18
	v_fmac_f32_e32 v5, 0xbf167918, v19
	;; [unrolled: 1-line block ×5, first 2 shown]
	v_mad_legacy_u16 v17, v43, 45, v44
	v_lshlrev_b32_e32 v164, 3, v17
	ds_write2_b64 v164, v[4:5], v[0:1] offset0:18 offset1:27
	v_add_f32_e32 v0, v10, v13
	v_sub_f32_e32 v1, v24, v13
	v_sub_f32_e32 v4, v6, v9
	v_add_f32_e32 v0, v0, v9
	v_add_f32_e32 v9, v1, v4
	v_sub_f32_e32 v4, v12, v8
	v_sub_f32_e32 v5, v7, v16
	v_add_f32_e32 v0, v0, v6
	v_add_f32_e32 v6, v4, v5
	v_mov_b32_e32 v4, v2
	v_mov_b32_e32 v5, v3
	v_add_f32_e32 v1, v15, v8
	v_fmac_f32_e32 v4, 0x3f737871, v14
	v_fmac_f32_e32 v5, 0xbf737871, v19
	v_add_f32_e32 v1, v1, v16
	v_fmac_f32_e32 v4, 0x3f167918, v11
	v_fmac_f32_e32 v5, 0xbf167918, v18
	;; [unrolled: 3-line block ×3, first 2 shown]
	s_movk_i32 s7, 0x6d
	ds_write2_b64 v164, v[0:1], v[4:5] offset1:9
	v_mul_lo_u16_sdwa v0, v142, s7 dst_sel:DWORD dst_unused:UNUSED_PAD src0_sel:BYTE_0 src1_sel:DWORD
	v_sub_u16_sdwa v1, v142, v0 dst_sel:DWORD dst_unused:UNUSED_PAD src0_sel:DWORD src1_sel:BYTE_1
	v_lshrrev_b16_e32 v1, 1, v1
	v_and_b32_e32 v1, 0x7f, v1
	v_add_u16_sdwa v0, v1, v0 dst_sel:DWORD dst_unused:UNUSED_PAD src0_sel:DWORD src1_sel:BYTE_1
	v_lshrrev_b16_e32 v12, 5, v0
	v_fmac_f32_e32 v2, 0xbf737871, v14
	v_fmac_f32_e32 v3, 0x3f737871, v19
	v_mul_lo_u16_e32 v0, 45, v12
	v_fmac_f32_e32 v2, 0xbf167918, v11
	v_fmac_f32_e32 v3, 0x3f167918, v18
	v_sub_u16_e32 v0, v142, v0
	v_fmac_f32_e32 v2, 0x3e9e377a, v9
	v_fmac_f32_e32 v3, 0x3e9e377a, v6
	v_and_b32_e32 v13, 0xff, v0
	ds_write_b64 v164, v[2:3] offset:288
	v_lshlrev_b32_e32 v2, 5, v13
	s_waitcnt lgkmcnt(0)
	s_barrier
	global_load_dwordx4 v[32:35], v2, s[10:11] offset:336
	s_movk_i32 s7, 0x2d83
	v_mul_u32_u24_sdwa v0, v28, s7 dst_sel:DWORD dst_unused:UNUSED_PAD src0_sel:WORD_0 src1_sel:DWORD
	v_lshrrev_b32_e32 v24, 19, v0
	v_mul_lo_u16_e32 v0, 45, v24
	v_sub_u16_e32 v25, v28, v0
	v_lshlrev_b16_e32 v0, 5, v25
	v_add_co_u32_e32 v0, vcc, s10, v0
	v_addc_co_u32_e32 v1, vcc, 0, v53, vcc
	global_load_dwordx4 v[36:39], v[0:1], off offset:336
	global_load_dwordx4 v[40:43], v2, s[10:11] offset:352
                                        ; kill: killed $vgpr2
	global_load_dwordx4 v[44:47], v[0:1], off offset:352
	ds_read2_b64 v[0:3], v146 offset0:42 offset1:177
	ds_read2_b64 v[8:11], v143 offset0:56 offset1:191
	ds_read_b64 v[22:23], v141 offset:15120
	s_waitcnt vmcnt(3) lgkmcnt(2)
	v_mul_f32_e32 v4, v1, v35
	v_fma_f32 v27, v0, v34, -v4
	ds_read2_b64 v[4:7], v144 offset0:84 offset1:219
	v_mul_f32_e32 v30, v0, v35
	v_fmac_f32_e32 v30, v1, v34
	s_waitcnt vmcnt(2)
	v_mul_f32_e32 v0, v3, v39
	v_fma_f32 v31, v2, v38, -v0
	v_mul_f32_e32 v49, v2, v39
	s_waitcnt vmcnt(1) lgkmcnt(0)
	v_mul_f32_e32 v0, v5, v43
	v_fmac_f32_e32 v49, v3, v38
	v_fma_f32 v50, v4, v42, -v0
	ds_read2_b64 v[0:3], v145 offset0:14 offset1:149
	v_mul_f32_e32 v51, v4, v43
	s_waitcnt vmcnt(0)
	v_mul_f32_e32 v4, v7, v47
	v_fma_f32 v54, v6, v46, -v4
	v_fmac_f32_e32 v51, v5, v42
	s_waitcnt lgkmcnt(0)
	v_mul_f32_e32 v4, v3, v33
	v_fma_f32 v155, v2, v32, -v4
	v_mul_f32_e32 v4, v11, v41
	v_fma_f32 v156, v10, v40, -v4
	v_mul_f32_e32 v55, v6, v47
	v_sub_f32_e32 v4, v155, v27
	v_sub_f32_e32 v5, v50, v156
	v_fmac_f32_e32 v55, v7, v46
	v_add_f32_e32 v157, v4, v5
	ds_read2_b64 v[4:7], v141 offset1:135
	v_mul_f32_e32 v159, v10, v41
	v_mul_f32_e32 v158, v2, v33
	v_fmac_f32_e32 v159, v11, v40
	v_add_f32_e32 v10, v27, v156
	v_fmac_f32_e32 v158, v3, v32
	s_waitcnt lgkmcnt(0)
	v_fma_f32 v18, -0.5, v10, v4
	v_add_f32_e32 v10, v30, v159
	v_fma_f32 v19, -0.5, v10, v5
	v_sub_f32_e32 v10, v158, v30
	v_sub_f32_e32 v11, v51, v159
	v_add_f32_e32 v160, v10, v11
	v_mul_u32_u24_e32 v10, 0xe1, v12
	v_add_lshl_u32 v154, v10, v13, 3
	v_mul_u32_u24_sdwa v10, v29, s7 dst_sel:DWORD dst_unused:UNUSED_PAD src0_sel:WORD_0 src1_sel:DWORD
	v_lshrrev_b32_e32 v161, 19, v10
	v_mul_lo_u16_e32 v10, 45, v161
	v_sub_u16_e32 v174, v29, v10
	v_lshlrev_b16_e32 v10, 5, v174
	v_add_co_u32_e32 v10, vcc, s10, v10
	v_addc_co_u32_e32 v11, vcc, 0, v53, vcc
	global_load_dwordx4 v[60:63], v[10:11], off offset:352
	global_load_dwordx4 v[56:59], v[10:11], off offset:336
	v_add_f32_e32 v2, v4, v155
	v_add_f32_e32 v3, v5, v158
	v_sub_f32_e32 v175, v158, v51
	v_mov_b32_e32 v20, v18
	v_mov_b32_e32 v21, v19
	v_sub_f32_e32 v177, v155, v50
	v_add_f32_e32 v2, v2, v27
	v_add_f32_e32 v3, v3, v30
	v_fmac_f32_e32 v20, 0x3f737871, v175
	v_sub_f32_e32 v176, v30, v159
	v_fmac_f32_e32 v21, 0xbf737871, v177
	v_sub_f32_e32 v178, v27, v156
	v_add_f32_e32 v2, v2, v156
	v_add_f32_e32 v3, v3, v159
	v_fmac_f32_e32 v20, 0x3f167918, v176
	v_fmac_f32_e32 v21, 0xbf167918, v178
	v_add_f32_e32 v2, v2, v50
	v_add_f32_e32 v3, v3, v51
	v_fmac_f32_e32 v20, 0x3e9e377a, v157
	v_fmac_f32_e32 v21, 0x3e9e377a, v160
	ds_read2_b64 v[10:13], v148 offset0:28 offset1:163
	ds_read2_b64 v[14:17], v147 offset0:70 offset1:205
	s_waitcnt vmcnt(0) lgkmcnt(0)
	s_barrier
	ds_write2_b64 v154, v[2:3], v[20:21] offset1:45
	v_sub_f32_e32 v2, v27, v155
	v_add_f32_e32 v3, v155, v50
	v_sub_f32_e32 v20, v156, v50
	v_add_f32_e32 v20, v2, v20
	v_fma_f32 v2, -0.5, v3, v4
	v_mov_b32_e32 v4, v2
	v_fmac_f32_e32 v4, 0xbf737871, v176
	v_fmac_f32_e32 v2, 0x3f737871, v176
	;; [unrolled: 1-line block ×4, first 2 shown]
	v_add_f32_e32 v3, v158, v51
	v_fmac_f32_e32 v4, 0x3e9e377a, v20
	v_fmac_f32_e32 v2, 0x3e9e377a, v20
	v_fma_f32 v3, -0.5, v3, v5
	v_sub_f32_e32 v5, v30, v158
	v_sub_f32_e32 v20, v159, v51
	v_add_f32_e32 v20, v5, v20
	v_mov_b32_e32 v5, v3
	v_fmac_f32_e32 v5, 0x3f737871, v178
	v_fmac_f32_e32 v3, 0xbf737871, v178
	;; [unrolled: 1-line block ×10, first 2 shown]
	ds_write2_b64 v154, v[4:5], v[2:3] offset0:90 offset1:135
	v_fmac_f32_e32 v18, 0x3e9e377a, v157
	v_fmac_f32_e32 v19, 0x3e9e377a, v160
	v_mul_f32_e32 v2, v11, v37
	ds_write_b64 v154, v[18:19] offset:1440
	v_fma_f32 v18, v10, v36, -v2
	v_mul_f32_e32 v2, v15, v45
	v_fma_f32 v19, v14, v44, -v2
	v_mul_f32_e32 v10, v10, v37
	v_add_f32_e32 v2, v31, v19
	v_add_f32_e32 v3, v18, v54
	v_fmac_f32_e32 v10, v11, v36
	v_mul_f32_e32 v11, v14, v45
	v_add_f32_e32 v20, v6, v18
	v_fma_f32 v2, -0.5, v2, v6
	v_fma_f32 v6, -0.5, v3, v6
	v_sub_f32_e32 v3, v31, v18
	v_sub_f32_e32 v4, v19, v54
	v_fmac_f32_e32 v11, v15, v44
	v_add_f32_e32 v3, v3, v4
	v_sub_f32_e32 v14, v49, v11
	v_mov_b32_e32 v4, v6
	v_fmac_f32_e32 v4, 0xbf737871, v14
	v_sub_f32_e32 v15, v10, v55
	v_fmac_f32_e32 v6, 0x3f737871, v14
	v_fmac_f32_e32 v4, 0x3f167918, v15
	;; [unrolled: 1-line block ×5, first 2 shown]
	v_add_f32_e32 v3, v49, v11
	v_add_f32_e32 v5, v10, v55
	v_fma_f32 v3, -0.5, v3, v7
	v_add_f32_e32 v21, v7, v10
	v_fmac_f32_e32 v7, -0.5, v5
	v_sub_f32_e32 v5, v49, v10
	v_sub_f32_e32 v27, v11, v55
	v_add_f32_e32 v27, v5, v27
	v_mov_b32_e32 v5, v7
	v_sub_f32_e32 v30, v31, v19
	v_fmac_f32_e32 v5, 0x3f737871, v30
	v_sub_f32_e32 v50, v18, v54
	v_fmac_f32_e32 v7, 0xbf737871, v30
	s_movk_i32 s7, 0xe1
	v_fmac_f32_e32 v5, 0xbf167918, v50
	v_fmac_f32_e32 v7, 0x3f167918, v50
	v_mad_legacy_u16 v24, v24, s7, v25
	v_fmac_f32_e32 v5, 0x3e9e377a, v27
	v_fmac_f32_e32 v7, 0x3e9e377a, v27
	v_lshlrev_b32_e32 v155, 3, v24
	ds_write2_b64 v155, v[4:5], v[6:7] offset0:90 offset1:135
	v_mul_f32_e32 v4, v13, v57
	v_fma_f32 v24, v12, v56, -v4
	v_mul_f32_e32 v12, v12, v57
	v_mul_f32_e32 v4, v9, v59
	v_fmac_f32_e32 v12, v13, v56
	v_fma_f32 v13, v8, v58, -v4
	v_mul_f32_e32 v8, v8, v59
	v_mul_f32_e32 v4, v17, v61
	v_fmac_f32_e32 v8, v9, v58
	v_fma_f32 v9, v16, v60, -v4
	v_mul_f32_e32 v16, v16, v61
	v_sub_f32_e32 v5, v18, v31
	v_sub_f32_e32 v6, v54, v19
	v_fmac_f32_e32 v16, v17, v60
	v_add_f32_e32 v17, v5, v6
	v_sub_f32_e32 v6, v10, v49
	v_sub_f32_e32 v7, v55, v11
	v_add_f32_e32 v10, v6, v7
	v_mov_b32_e32 v6, v2
	v_mov_b32_e32 v7, v3
	v_add_f32_e32 v4, v20, v31
	v_add_f32_e32 v5, v21, v49
	v_fmac_f32_e32 v6, 0x3f737871, v15
	v_fmac_f32_e32 v7, 0xbf737871, v50
	v_add_f32_e32 v4, v4, v19
	v_add_f32_e32 v5, v5, v11
	v_fmac_f32_e32 v6, 0x3f167918, v14
	v_fmac_f32_e32 v7, 0xbf167918, v30
	v_add_f32_e32 v4, v4, v54
	v_add_f32_e32 v5, v5, v55
	v_fmac_f32_e32 v6, 0x3e9e377a, v17
	v_fmac_f32_e32 v7, 0x3e9e377a, v10
	v_fmac_f32_e32 v2, 0xbf737871, v15
	v_fmac_f32_e32 v3, 0x3f737871, v50
	ds_write2_b64 v155, v[4:5], v[6:7] offset1:45
	v_mul_f32_e32 v4, v23, v63
	v_fmac_f32_e32 v2, 0xbf167918, v14
	v_fmac_f32_e32 v3, 0x3f167918, v30
	v_fma_f32 v6, v22, v62, -v4
	v_fmac_f32_e32 v2, 0x3e9e377a, v17
	v_fmac_f32_e32 v3, 0x3e9e377a, v10
	ds_write_b64 v155, v[2:3] offset:1440
	v_add_f32_e32 v2, v13, v9
	v_add_f32_e32 v3, v24, v6
	v_mul_f32_e32 v7, v22, v63
	v_add_f32_e32 v10, v0, v24
	v_fma_f32 v2, -0.5, v2, v0
	v_fma_f32 v0, -0.5, v3, v0
	v_sub_f32_e32 v3, v13, v24
	v_sub_f32_e32 v4, v9, v6
	v_fmac_f32_e32 v7, v23, v62
	v_add_f32_e32 v3, v3, v4
	v_sub_f32_e32 v11, v8, v16
	v_mov_b32_e32 v4, v0
	v_fmac_f32_e32 v4, 0xbf737871, v11
	v_sub_f32_e32 v14, v12, v7
	v_fmac_f32_e32 v0, 0x3f737871, v11
	v_fmac_f32_e32 v4, 0x3f167918, v14
	v_fmac_f32_e32 v0, 0xbf167918, v14
	v_fmac_f32_e32 v4, 0x3e9e377a, v3
	v_fmac_f32_e32 v0, 0x3e9e377a, v3
	v_add_f32_e32 v3, v8, v16
	v_add_f32_e32 v5, v12, v7
	v_fma_f32 v3, -0.5, v3, v1
	v_add_f32_e32 v15, v1, v12
	v_fmac_f32_e32 v1, -0.5, v5
	v_sub_f32_e32 v5, v8, v12
	v_sub_f32_e32 v17, v16, v7
	v_add_f32_e32 v17, v5, v17
	v_mov_b32_e32 v5, v1
	v_sub_f32_e32 v18, v13, v9
	v_fmac_f32_e32 v5, 0x3f737871, v18
	v_sub_f32_e32 v19, v24, v6
	v_fmac_f32_e32 v1, 0xbf737871, v18
	v_fmac_f32_e32 v5, 0xbf167918, v19
	v_fmac_f32_e32 v1, 0x3f167918, v19
	v_fmac_f32_e32 v5, 0x3e9e377a, v17
	v_fmac_f32_e32 v1, 0x3e9e377a, v17
	v_mad_legacy_u16 v17, v161, s7, v174
	v_lshlrev_b32_e32 v156, 3, v17
	ds_write2_b64 v156, v[4:5], v[0:1] offset0:90 offset1:135
	v_add_f32_e32 v0, v10, v13
	v_sub_f32_e32 v1, v24, v13
	v_sub_f32_e32 v4, v6, v9
	v_add_f32_e32 v0, v0, v9
	v_add_f32_e32 v9, v1, v4
	v_sub_f32_e32 v4, v12, v8
	v_sub_f32_e32 v5, v7, v16
	v_add_f32_e32 v0, v0, v6
	v_add_f32_e32 v6, v4, v5
	v_mov_b32_e32 v4, v2
	v_mov_b32_e32 v5, v3
	v_add_f32_e32 v1, v15, v8
	v_fmac_f32_e32 v4, 0x3f737871, v14
	v_fmac_f32_e32 v5, 0xbf737871, v19
	v_add_f32_e32 v1, v1, v16
	v_fmac_f32_e32 v4, 0x3f167918, v11
	v_fmac_f32_e32 v5, 0xbf167918, v18
	;; [unrolled: 3-line block ×3, first 2 shown]
	v_fmac_f32_e32 v2, 0xbf737871, v14
	v_fmac_f32_e32 v3, 0x3f737871, v19
	s_movk_i32 s7, 0xffa6
	ds_write2_b64 v156, v[0:1], v[4:5] offset1:45
	v_fmac_f32_e32 v2, 0xbf167918, v11
	v_fmac_f32_e32 v3, 0x3f167918, v18
	v_add_co_u32_e32 v0, vcc, s7, v142
	v_fmac_f32_e32 v2, 0x3e9e377a, v9
	v_fmac_f32_e32 v3, 0x3e9e377a, v6
	v_addc_co_u32_e64 v1, s[8:9], 0, -1, vcc
	v_cmp_gt_u16_e32 vcc, s12, v142
	v_lshlrev_b32_e32 v51, 4, v142
	ds_write_b64 v156, v[2:3] offset:1440
	v_cndmask_b32_e32 v31, v1, v26, vcc
	v_cndmask_b32_e32 v30, v0, v28, vcc
	s_waitcnt lgkmcnt(0)
	s_barrier
	global_load_dwordx4 v[0:3], v51, s[10:11] offset:1776
	v_lshlrev_b64 v[4:5], 4, v[30:31]
	s_mov_b32 s7, 0x91a3
	v_add_co_u32_e32 v4, vcc, s10, v4
	v_addc_co_u32_e32 v5, vcc, v53, v5, vcc
	global_load_dwordx4 v[4:7], v[4:5], off offset:1776
	s_nop 0
	global_load_dwordx4 v[8:11], v51, s[10:11] offset:2496
	v_mul_u32_u24_sdwa v12, v48, s7 dst_sel:DWORD dst_unused:UNUSED_PAD src0_sel:WORD_0 src1_sel:DWORD
	v_lshrrev_b32_e32 v159, 23, v12
	v_mul_lo_u16_e32 v12, 0xe1, v159
	v_sub_u16_e32 v161, v48, v12
	v_mul_u32_u24_sdwa v16, v52, s7 dst_sel:DWORD dst_unused:UNUSED_PAD src0_sel:WORD_0 src1_sel:DWORD
	v_lshlrev_b16_e32 v12, 4, v161
	v_lshrrev_b32_e32 v16, 23, v16
	v_add_co_u32_e32 v12, vcc, s10, v12
	v_mul_lo_u16_e32 v16, 0xe1, v16
	v_addc_co_u32_e32 v13, vcc, 0, v53, vcc
	v_sub_u16_e32 v176, v52, v16
	global_load_dwordx4 v[12:15], v[12:13], off offset:1776
	v_lshlrev_b16_e32 v16, 4, v176
	v_add_co_u32_e32 v16, vcc, s10, v16
	v_addc_co_u32_e32 v17, vcc, 0, v53, vcc
	global_load_dwordx4 v[16:19], v[16:17], off offset:1776
	ds_read2_b64 v[20:23], v147 offset0:70 offset1:205
	s_movk_i32 s7, 0x59
	v_cmp_lt_u16_e32 vcc, s7, v142
	s_movk_i32 s7, 0x2a3
	v_lshlrev_b32_e32 v48, 4, v48
	v_lshlrev_b32_e32 v52, 4, v52
	s_waitcnt vmcnt(4) lgkmcnt(0)
	v_mul_f32_e32 v24, v21, v3
	v_fma_f32 v31, v20, v2, -v24
	ds_read2_b64 v[24:27], v146 offset0:42 offset1:177
	v_mul_f32_e32 v54, v20, v3
	v_fmac_f32_e32 v54, v21, v2
	s_waitcnt vmcnt(3)
	v_mul_f32_e32 v20, v23, v7
	v_fma_f32 v160, v22, v6, -v20
	v_mul_f32_e32 v177, v22, v7
	s_waitcnt lgkmcnt(0)
	v_mul_f32_e32 v20, v25, v5
	v_fmac_f32_e32 v177, v23, v6
	v_fma_f32 v178, v24, v4, -v20
	ds_read2_b64 v[20:23], v144 offset0:84 offset1:219
	v_mul_f32_e32 v179, v24, v5
	s_waitcnt vmcnt(2)
	v_mul_f32_e32 v24, v27, v9
	v_fma_f32 v180, v26, v8, -v24
	v_mul_f32_e32 v181, v26, v9
	s_waitcnt lgkmcnt(0)
	v_mul_f32_e32 v24, v21, v11
	v_fmac_f32_e32 v179, v25, v4
	v_fmac_f32_e32 v181, v27, v8
	v_fma_f32 v182, v20, v10, -v24
	ds_read2_b64 v[24:27], v143 offset0:56 offset1:191
	v_mul_f32_e32 v183, v20, v11
	s_waitcnt vmcnt(1)
	v_mul_f32_e32 v20, v23, v15
	v_fma_f32 v184, v22, v14, -v20
	v_mul_f32_e32 v185, v22, v15
	s_waitcnt lgkmcnt(0)
	v_mul_f32_e32 v20, v25, v13
	v_fmac_f32_e32 v183, v21, v10
	v_fmac_f32_e32 v185, v23, v14
	v_fma_f32 v186, v24, v12, -v20
	ds_read2_b64 v[20:23], v148 offset0:28 offset1:163
	v_mul_f32_e32 v187, v24, v13
	s_waitcnt vmcnt(0)
	v_mul_f32_e32 v24, v27, v17
	v_mul_f32_e32 v189, v26, v17
	v_fmac_f32_e32 v187, v25, v12
	v_fma_f32 v188, v26, v16, -v24
	v_fmac_f32_e32 v189, v27, v16
	ds_read2_b64 v[24:27], v141 offset1:135
	s_waitcnt lgkmcnt(1)
	v_mul_f32_e32 v49, v23, v1
	v_fma_f32 v157, v22, v0, -v49
	v_mul_f32_e32 v22, v22, v1
	v_fmac_f32_e32 v22, v23, v0
	s_waitcnt lgkmcnt(0)
	v_add_f32_e32 v23, v24, v157
	v_add_f32_e32 v49, v23, v31
	;; [unrolled: 1-line block ×3, first 2 shown]
	v_sub_f32_e32 v190, v22, v54
	v_add_f32_e32 v22, v22, v54
	v_add_f32_e32 v50, v23, v54
	;; [unrolled: 1-line block ×3, first 2 shown]
	v_fma_f32 v55, -0.5, v22, v25
	v_fma_f32 v54, -0.5, v23, v24
	v_sub_f32_e32 v31, v157, v31
	v_mov_b32_e32 v158, v55
	v_mov_b32_e32 v157, v54
	v_fmac_f32_e32 v158, 0xbf5db3d7, v31
	v_fmac_f32_e32 v55, 0x3f5db3d7, v31
	v_mov_b32_e32 v31, 0x2a3
	v_fmac_f32_e32 v157, 0x3f5db3d7, v190
	v_cndmask_b32_e32 v31, 0, v31, vcc
	ds_read_b64 v[174:175], v141 offset:15120
	ds_read2_b64 v[22:25], v145 offset0:14 offset1:149
	s_waitcnt lgkmcnt(0)
	s_barrier
	ds_write2_b64 v141, v[49:50], v[157:158] offset1:225
	v_add_lshl_u32 v157, v30, v31, 3
	v_add_f32_e32 v31, v178, v160
	v_add_f32_e32 v49, v179, v177
	v_fmac_f32_e32 v54, 0xbf5db3d7, v190
	v_add_f32_e32 v30, v26, v178
	v_fma_f32 v26, -0.5, v31, v26
	v_add_f32_e32 v31, v27, v179
	v_fmac_f32_e32 v27, -0.5, v49
	ds_write_b64 v141, v[54:55] offset:3600
	v_sub_f32_e32 v54, v179, v177
	v_sub_f32_e32 v55, v178, v160
	v_mov_b32_e32 v49, v26
	v_mov_b32_e32 v50, v27
	v_add_f32_e32 v30, v30, v160
	v_add_f32_e32 v31, v31, v177
	v_fmac_f32_e32 v49, 0x3f5db3d7, v54
	v_fmac_f32_e32 v50, 0xbf5db3d7, v55
	ds_write2_b64 v157, v[30:31], v[49:50] offset1:225
	v_fmac_f32_e32 v26, 0xbf5db3d7, v54
	v_fmac_f32_e32 v27, 0x3f5db3d7, v55
	v_add_f32_e32 v30, v181, v183
	v_add_f32_e32 v31, v180, v182
	ds_write_b64 v157, v[26:27] offset:3600
	v_add_f32_e32 v26, v22, v180
	v_add_f32_e32 v27, v23, v181
	v_fma_f32 v22, -0.5, v31, v22
	v_fma_f32 v23, -0.5, v30, v23
	v_sub_f32_e32 v49, v181, v183
	v_sub_f32_e32 v50, v180, v182
	v_mov_b32_e32 v30, v22
	v_mov_b32_e32 v31, v23
	v_add_f32_e32 v26, v26, v182
	v_add_f32_e32 v27, v27, v183
	v_fmac_f32_e32 v30, 0x3f5db3d7, v49
	v_fmac_f32_e32 v31, 0xbf5db3d7, v50
	v_add_u32_e32 v160, 0x1600, v141
	v_fmac_f32_e32 v22, 0xbf5db3d7, v49
	v_fmac_f32_e32 v23, 0x3f5db3d7, v50
	ds_write2_b64 v160, v[26:27], v[30:31] offset0:16 offset1:241
	ds_write_b64 v141, v[22:23] offset:9360
	v_add_f32_e32 v23, v186, v184
	v_add_f32_e32 v26, v187, v185
	;; [unrolled: 1-line block ×3, first 2 shown]
	v_fma_f32 v24, -0.5, v23, v24
	v_add_f32_e32 v23, v25, v187
	v_fmac_f32_e32 v25, -0.5, v26
	v_sub_f32_e32 v30, v187, v185
	v_sub_f32_e32 v31, v186, v184
	v_mad_legacy_u16 v49, v159, s7, v161
	v_mov_b32_e32 v26, v24
	v_mov_b32_e32 v27, v25
	v_add_f32_e32 v22, v22, v184
	v_add_f32_e32 v23, v23, v185
	v_fmac_f32_e32 v26, 0x3f5db3d7, v30
	v_fmac_f32_e32 v27, 0xbf5db3d7, v31
	v_lshlrev_b32_e32 v158, 3, v49
	ds_write2_b64 v158, v[22:23], v[26:27] offset1:225
	v_fmac_f32_e32 v24, 0xbf5db3d7, v30
	v_fmac_f32_e32 v25, 0x3f5db3d7, v31
	v_mul_f32_e32 v22, v175, v19
	ds_write_b64 v158, v[24:25] offset:3600
	v_fma_f32 v24, v174, v18, -v22
	v_mul_f32_e32 v25, v174, v19
	v_add_f32_e32 v23, v188, v24
	v_fmac_f32_e32 v25, v175, v18
	v_add_f32_e32 v22, v20, v188
	v_fma_f32 v20, -0.5, v23, v20
	v_add_f32_e32 v23, v21, v189
	v_add_f32_e32 v23, v23, v25
	v_sub_f32_e32 v26, v189, v25
	v_add_f32_e32 v25, v189, v25
	v_fmac_f32_e32 v21, -0.5, v25
	v_sub_f32_e32 v27, v188, v24
	v_add_f32_e32 v22, v22, v24
	v_mov_b32_e32 v24, v20
	v_mov_b32_e32 v25, v21
	v_lshlrev_b32_e32 v159, 3, v176
	v_fmac_f32_e32 v20, 0xbf5db3d7, v26
	v_fmac_f32_e32 v21, 0x3f5db3d7, v27
	ds_write_b64 v159, v[20:21] offset:14400
	v_add_co_u32_e32 v20, vcc, s10, v51
	v_addc_co_u32_e32 v21, vcc, 0, v53, vcc
	v_add_co_u32_e32 v20, vcc, s6, v20
	v_fmac_f32_e32 v24, 0x3f5db3d7, v26
	v_fmac_f32_e32 v25, 0xbf5db3d7, v27
	v_add_u32_e32 v161, 0x2a00, v159
	v_addc_co_u32_e32 v21, vcc, 0, v21, vcc
	ds_write2_b64 v161, v[22:23], v[24:25] offset0:6 offset1:231
	s_waitcnt lgkmcnt(0)
	s_barrier
	global_load_dwordx4 v[24:27], v[20:21], off offset:1280
	v_lshlrev_b32_e32 v20, 4, v28
	v_add_co_u32_e32 v20, vcc, s10, v20
	v_addc_co_u32_e32 v21, vcc, 0, v53, vcc
	v_add_co_u32_e32 v20, vcc, s6, v20
	v_addc_co_u32_e32 v21, vcc, 0, v21, vcc
	v_lshlrev_b32_e32 v28, 4, v29
	v_add_co_u32_e32 v28, vcc, s10, v28
	global_load_dwordx4 v[20:23], v[20:21], off offset:1280
	v_addc_co_u32_e32 v29, vcc, 0, v53, vcc
	v_add_co_u32_e32 v28, vcc, s6, v28
	v_addc_co_u32_e32 v29, vcc, 0, v29, vcc
	global_load_dwordx4 v[28:31], v[28:29], off offset:1280
	ds_read2_b64 v[174:177], v147 offset0:70 offset1:205
	v_add_co_u32_e32 v48, vcc, s10, v48
	ds_read2_b64 v[178:181], v146 offset0:42 offset1:177
	s_waitcnt vmcnt(2) lgkmcnt(1)
	v_mul_f32_e32 v49, v175, v27
	v_fma_f32 v182, v174, v26, -v49
	v_addc_co_u32_e32 v49, vcc, 0, v53, vcc
	v_add_co_u32_e32 v48, vcc, s6, v48
	v_addc_co_u32_e32 v49, vcc, 0, v49, vcc
	v_add_co_u32_e32 v52, vcc, s10, v52
	;; [unrolled: 2-line block ×3, first 2 shown]
	global_load_dwordx4 v[48:51], v[48:49], off offset:1280
	v_addc_co_u32_e32 v53, vcc, 0, v53, vcc
	global_load_dwordx4 v[52:55], v[52:53], off offset:1280
	v_mul_f32_e32 v183, v174, v27
	s_waitcnt vmcnt(3)
	v_mul_f32_e32 v174, v177, v23
	v_fma_f32 v196, v176, v22, -v174
	v_mul_f32_e32 v197, v176, v23
	s_waitcnt lgkmcnt(0)
	v_mul_f32_e32 v174, v179, v21
	v_fmac_f32_e32 v183, v175, v26
	v_fmac_f32_e32 v197, v177, v22
	v_fma_f32 v198, v178, v20, -v174
	ds_read2_b64 v[174:177], v148 offset0:28 offset1:163
	v_mul_f32_e32 v199, v178, v21
	s_waitcnt vmcnt(2)
	v_mul_f32_e32 v178, v181, v29
	v_mul_f32_e32 v201, v180, v29
	v_fmac_f32_e32 v199, v179, v20
	v_fma_f32 v200, v180, v28, -v178
	v_fmac_f32_e32 v201, v181, v28
	ds_read2_b64 v[178:181], v141 offset1:135
	s_waitcnt lgkmcnt(1)
	v_mul_f32_e32 v184, v177, v25
	v_fma_f32 v184, v176, v24, -v184
	v_mul_f32_e32 v176, v176, v25
	v_fmac_f32_e32 v176, v177, v24
	s_waitcnt lgkmcnt(0)
	v_add_f32_e32 v177, v178, v184
	v_add_f32_e32 v190, v177, v182
	;; [unrolled: 1-line block ×4, first 2 shown]
	v_sub_f32_e32 v185, v176, v183
	v_add_f32_e32 v177, v176, v183
	v_add_f32_e32 v176, v184, v182
	v_fma_f32 v176, -0.5, v176, v178
	v_fma_f32 v177, -0.5, v177, v179
	v_sub_f32_e32 v182, v184, v182
	v_mov_b32_e32 v178, v176
	v_mov_b32_e32 v179, v177
	v_fmac_f32_e32 v176, 0xbf5db3d7, v185
	v_fmac_f32_e32 v177, 0x3f5db3d7, v182
	;; [unrolled: 1-line block ×4, first 2 shown]
	ds_write_b64 v141, v[176:177] offset:10800
	v_add_f32_e32 v176, v180, v198
	ds_write_b64 v141, v[178:179] offset:5400
	v_add_f32_e32 v192, v176, v196
	v_add_f32_e32 v176, v181, v199
	;; [unrolled: 1-line block ×3, first 2 shown]
	ds_read_b64 v[194:195], v141 offset:15120
	ds_read2_b64 v[176:179], v145 offset0:14 offset1:149
	ds_read2_b64 v[182:185], v144 offset0:84 offset1:219
	;; [unrolled: 1-line block ×3, first 2 shown]
	ds_write2_b64 v141, v[190:191], v[192:193] offset1:135
	v_add_f32_e32 v190, v198, v196
	v_fma_f32 v180, -0.5, v190, v180
	v_add_f32_e32 v190, v199, v197
	v_fmac_f32_e32 v181, -0.5, v190
	v_sub_f32_e32 v196, v198, v196
	s_waitcnt lgkmcnt(2)
	v_mul_f32_e32 v190, v183, v31
	v_mul_f32_e32 v198, v182, v31
	v_sub_f32_e32 v202, v199, v197
	v_fma_f32 v197, v182, v30, -v190
	v_fmac_f32_e32 v198, v183, v30
	v_add_f32_e32 v182, v200, v197
	v_add_f32_e32 v183, v201, v198
	v_fma_f32 v182, -0.5, v182, v176
	v_fma_f32 v183, -0.5, v183, v177
	v_sub_f32_e32 v199, v201, v198
	v_sub_f32_e32 v203, v200, v197
	v_mov_b32_e32 v190, v180
	v_fmac_f32_e32 v180, 0xbf5db3d7, v202
	v_mov_b32_e32 v191, v181
	v_fmac_f32_e32 v181, 0x3f5db3d7, v196
	;; [unrolled: 2-line block ×4, first 2 shown]
	ds_write2_b64 v149, v[180:181], v[182:183] offset0:77 offset1:212
	v_fmac_f32_e32 v190, 0x3f5db3d7, v202
	v_fmac_f32_e32 v191, 0xbf5db3d7, v196
	;; [unrolled: 1-line block ×4, first 2 shown]
	ds_write2_b64 v146, v[190:191], v[192:193] offset0:42 offset1:177
	s_movk_i32 s6, 0x3f48
	s_waitcnt vmcnt(1)
	v_mul_f32_e32 v180, v185, v51
	v_fma_f32 v204, v184, v50, -v180
	v_mul_f32_e32 v184, v184, v51
	s_waitcnt lgkmcnt(3)
	v_mul_f32_e32 v180, v187, v49
	s_waitcnt vmcnt(0)
	v_mul_f32_e32 v182, v189, v53
	v_fmac_f32_e32 v184, v185, v50
	v_fma_f32 v181, v186, v48, -v180
	v_mul_f32_e32 v180, v186, v49
	v_fma_f32 v183, v188, v52, -v182
	v_mul_f32_e32 v182, v188, v53
	v_mul_f32_e32 v185, v195, v55
	;; [unrolled: 1-line block ×3, first 2 shown]
	v_fmac_f32_e32 v180, v187, v48
	v_fmac_f32_e32 v182, v189, v52
	v_fma_f32 v185, v194, v54, -v185
	v_fmac_f32_e32 v186, v195, v54
	v_add_f32_e32 v188, v181, v204
	v_add_f32_e32 v189, v180, v184
	;; [unrolled: 1-line block ×5, first 2 shown]
	v_fma_f32 v178, -0.5, v188, v178
	v_add_f32_e32 v188, v179, v180
	v_fmac_f32_e32 v179, -0.5, v189
	v_add_f32_e32 v189, v174, v183
	v_fma_f32 v174, -0.5, v194, v174
	v_add_f32_e32 v194, v175, v182
	v_fmac_f32_e32 v175, -0.5, v195
	v_sub_f32_e32 v195, v180, v184
	v_sub_f32_e32 v205, v181, v204
	;; [unrolled: 1-line block ×4, first 2 shown]
	v_mov_b32_e32 v180, v178
	v_fmac_f32_e32 v178, 0xbf5db3d7, v195
	v_mov_b32_e32 v181, v179
	v_fmac_f32_e32 v179, 0x3f5db3d7, v205
	;; [unrolled: 2-line block ×4, first 2 shown]
	ds_write2_b64 v150, v[178:179], v[174:175] offset0:91 offset1:226
	v_add_f32_e32 v174, v176, v200
	v_add_f32_e32 v175, v177, v201
	;; [unrolled: 1-line block ×6, first 2 shown]
	ds_write2_b64 v145, v[174:175], v[176:177] offset0:14 offset1:149
	v_fmac_f32_e32 v180, 0x3f5db3d7, v195
	v_fmac_f32_e32 v181, 0xbf5db3d7, v205
	;; [unrolled: 1-line block ×4, first 2 shown]
	v_add_f32_e32 v174, v189, v185
	v_add_f32_e32 v175, v194, v186
	ds_write2_b64 v143, v[180:181], v[182:183] offset0:56 offset1:191
	ds_write_b64 v141, v[174:175] offset:4320
	s_waitcnt lgkmcnt(0)
	s_barrier
	global_load_dwordx2 v[139:140], v[139:140], off offset:3912
	v_add_co_u32_e32 v174, vcc, s6, v151
	v_addc_co_u32_e32 v175, vcc, 0, v152, vcc
	global_load_dwordx2 v[182:183], v[174:175], off offset:1080
	s_movk_i32 s6, 0x6000
	v_add_co_u32_e32 v176, vcc, s6, v151
	v_addc_co_u32_e32 v177, vcc, 0, v152, vcc
	global_load_dwordx2 v[184:185], v[176:177], off offset:2424
	global_load_dwordx2 v[186:187], v[176:177], off offset:3504
	s_movk_i32 s6, 0x5000
	v_add_co_u32_e32 v178, vcc, s6, v151
	v_addc_co_u32_e32 v179, vcc, 0, v152, vcc
	global_load_dwordx2 v[188:189], v[178:179], off offset:2200
	global_load_dwordx2 v[190:191], v[178:179], off offset:3280
	;; [unrolled: 1-line block ×4, first 2 shown]
	s_movk_i32 s6, 0x7000
	v_add_co_u32_e32 v151, vcc, s6, v151
	v_addc_co_u32_e32 v152, vcc, 0, v152, vcc
	global_load_dwordx2 v[196:197], v[151:152], off offset:488
	global_load_dwordx2 v[198:199], v[151:152], off offset:1568
	;; [unrolled: 1-line block ×6, first 2 shown]
	ds_read2_b64 v[174:177], v141 offset1:135
	global_load_dwordx2 v[151:152], v[151:152], off offset:2648
	s_waitcnt vmcnt(14) lgkmcnt(0)
	v_mul_f32_e32 v178, v175, v140
	v_mul_f32_e32 v179, v174, v140
	v_fma_f32 v178, v174, v139, -v178
	v_fmac_f32_e32 v179, v175, v139
	ds_write_b64 v141, v[178:179]
	ds_read2_b64 v[178:181], v147 offset0:70 offset1:205
	s_waitcnt vmcnt(13)
	v_mul_f32_e32 v139, v177, v183
	v_mul_f32_e32 v140, v176, v183
	v_fma_f32 v139, v176, v182, -v139
	v_fmac_f32_e32 v140, v177, v182
	s_waitcnt vmcnt(12) lgkmcnt(0)
	v_mul_f32_e32 v174, v179, v185
	v_fma_f32 v182, v178, v184, -v174
	ds_read2_b64 v[174:177], v146 offset0:42 offset1:177
	v_mul_f32_e32 v183, v178, v185
	s_waitcnt vmcnt(11)
	v_mul_f32_e32 v178, v181, v187
	v_fmac_f32_e32 v183, v179, v184
	v_fma_f32 v184, v180, v186, -v178
	v_mul_f32_e32 v185, v180, v187
	s_waitcnt vmcnt(10) lgkmcnt(0)
	v_mul_f32_e32 v178, v175, v189
	v_fmac_f32_e32 v185, v181, v186
	v_fma_f32 v186, v174, v188, -v178
	ds_read2_b64 v[178:181], v145 offset0:14 offset1:149
	v_mul_f32_e32 v187, v174, v189
	s_waitcnt vmcnt(9)
	v_mul_f32_e32 v174, v177, v191
	v_fmac_f32_e32 v187, v175, v188
	v_fma_f32 v188, v176, v190, -v174
	v_mul_f32_e32 v189, v176, v191
	s_waitcnt vmcnt(8) lgkmcnt(0)
	v_mul_f32_e32 v174, v179, v193
	v_fmac_f32_e32 v189, v177, v190
	;; [unrolled: 11-line block ×5, first 2 shown]
	v_fma_f32 v178, v174, v204, -v178
	v_mul_f32_e32 v179, v174, v205
	s_waitcnt vmcnt(1)
	v_mul_f32_e32 v174, v177, v207
	v_fmac_f32_e32 v179, v175, v204
	v_fma_f32 v174, v176, v206, -v174
	v_mul_f32_e32 v175, v176, v207
	v_add_u32_e32 v176, 0x1400, v141
	ds_write2_b64 v176, v[198:199], v[186:187] offset0:35 offset1:170
	v_add_u32_e32 v176, 0x400, v141
	ds_write2_b64 v176, v[139:140], v[190:191] offset0:7 offset1:142
	;; [unrolled: 2-line block ×3, first 2 shown]
	ds_read_b64 v[139:140], v141 offset:15120
	v_add_u32_e32 v176, 0xc00, v141
	v_fmac_f32_e32 v175, v177, v206
	ds_write2_b64 v176, v[192:193], v[180:181] offset0:21 offset1:156
	v_add_u32_e32 v176, 0x2400, v141
	ds_write2_b64 v176, v[174:175], v[182:183] offset0:63 offset1:198
	ds_write2_b64 v149, v[184:185], v[194:195] offset0:77 offset1:212
	s_waitcnt vmcnt(0) lgkmcnt(3)
	v_mul_f32_e32 v174, v140, v152
	v_mul_f32_e32 v175, v139, v152
	v_fma_f32 v174, v139, v151, -v174
	v_fmac_f32_e32 v175, v140, v151
	ds_write2_b64 v150, v[196:197], v[174:175] offset0:91 offset1:226
	s_waitcnt lgkmcnt(0)
	s_barrier
	ds_read2_b64 v[174:177], v141 offset1:135
	ds_read2_b64 v[178:181], v148 offset0:28 offset1:163
	ds_read2_b64 v[182:185], v147 offset0:70 offset1:205
	s_waitcnt lgkmcnt(1)
	v_add_f32_e32 v139, v174, v180
	s_waitcnt lgkmcnt(0)
	v_add_f32_e32 v151, v180, v182
	v_add_f32_e32 v152, v181, v183
	;; [unrolled: 1-line block ×3, first 2 shown]
	v_fma_f32 v151, -0.5, v151, v174
	v_fma_f32 v152, -0.5, v152, v175
	v_add_f32_e32 v139, v139, v182
	v_add_f32_e32 v140, v140, v183
	v_sub_f32_e32 v200, v181, v183
	v_mov_b32_e32 v174, v151
	v_mov_b32_e32 v175, v152
	v_sub_f32_e32 v201, v180, v182
	ds_read_b64 v[198:199], v141 offset:15120
	ds_read2_b64 v[180:183], v146 offset0:42 offset1:177
	ds_read2_b64 v[186:189], v145 offset0:14 offset1:149
	;; [unrolled: 1-line block ×4, first 2 shown]
	v_fmac_f32_e32 v174, 0xbf5db3d7, v200
	v_fmac_f32_e32 v175, 0x3f5db3d7, v201
	s_waitcnt lgkmcnt(0)
	s_barrier
	ds_write2_b64 v153, v[139:140], v[174:175] offset1:1
	v_add_f32_e32 v140, v177, v181
	v_add_f32_e32 v174, v180, v184
	v_sub_f32_e32 v175, v181, v185
	v_add_f32_e32 v181, v181, v185
	v_add_f32_e32 v139, v176, v180
	v_fmac_f32_e32 v151, 0x3f5db3d7, v200
	v_fmac_f32_e32 v152, 0xbf5db3d7, v201
	v_fma_f32 v176, -0.5, v174, v176
	v_fmac_f32_e32 v177, -0.5, v181
	v_sub_f32_e32 v180, v180, v184
	ds_write_b64 v153, v[151:152] offset:16
	v_mov_b32_e32 v151, v176
	v_mov_b32_e32 v152, v177
	v_add_f32_e32 v139, v139, v184
	v_add_f32_e32 v140, v140, v185
	v_fmac_f32_e32 v151, 0xbf5db3d7, v175
	v_fmac_f32_e32 v152, 0x3f5db3d7, v180
	ds_write2_b64 v171, v[139:140], v[151:152] offset1:1
	v_add_f32_e32 v151, v182, v190
	v_add_f32_e32 v152, v183, v191
	v_fmac_f32_e32 v176, 0x3f5db3d7, v175
	v_fmac_f32_e32 v177, 0xbf5db3d7, v180
	v_fma_f32 v151, -0.5, v151, v186
	v_fma_f32 v152, -0.5, v152, v187
	ds_write_b64 v171, v[176:177] offset:16
	v_add_f32_e32 v139, v186, v182
	v_sub_f32_e32 v153, v183, v191
	v_add_f32_e32 v140, v187, v183
	v_sub_f32_e32 v171, v182, v190
	v_mov_b32_e32 v174, v151
	v_mov_b32_e32 v175, v152
	v_add_f32_e32 v139, v139, v190
	v_add_f32_e32 v140, v140, v191
	v_fmac_f32_e32 v174, 0xbf5db3d7, v153
	v_fmac_f32_e32 v175, 0x3f5db3d7, v171
	ds_write2_b64 v173, v[139:140], v[174:175] offset1:1
	v_add_f32_e32 v174, v194, v192
	v_add_f32_e32 v176, v195, v193
	;; [unrolled: 1-line block ×4, first 2 shown]
	v_fmac_f32_e32 v151, 0x3f5db3d7, v153
	v_fmac_f32_e32 v152, 0xbf5db3d7, v171
	v_fma_f32 v188, -0.5, v174, v188
	v_fmac_f32_e32 v189, -0.5, v176
	v_sub_f32_e32 v175, v195, v193
	v_sub_f32_e32 v177, v194, v192
	ds_write_b64 v173, v[151:152] offset:16
	v_mov_b32_e32 v151, v188
	v_mov_b32_e32 v152, v189
	v_add_f32_e32 v139, v139, v192
	v_add_f32_e32 v140, v140, v193
	v_fmac_f32_e32 v151, 0xbf5db3d7, v175
	v_fmac_f32_e32 v152, 0x3f5db3d7, v177
	ds_write2_b64 v172, v[139:140], v[151:152] offset1:1
	v_add_f32_e32 v151, v196, v198
	v_add_f32_e32 v152, v197, v199
	;; [unrolled: 1-line block ×4, first 2 shown]
	v_fma_f32 v178, -0.5, v151, v178
	v_fmac_f32_e32 v179, -0.5, v152
	v_sub_f32_e32 v153, v197, v199
	v_sub_f32_e32 v171, v196, v198
	v_mov_b32_e32 v151, v178
	v_mov_b32_e32 v152, v179
	v_fmac_f32_e32 v188, 0x3f5db3d7, v175
	v_fmac_f32_e32 v189, 0xbf5db3d7, v177
	v_add_f32_e32 v139, v139, v198
	v_add_f32_e32 v140, v140, v199
	v_fmac_f32_e32 v151, 0xbf5db3d7, v153
	v_fmac_f32_e32 v152, 0x3f5db3d7, v171
	;; [unrolled: 1-line block ×4, first 2 shown]
	ds_write_b64 v172, v[188:189] offset:16
	ds_write2_b64 v170, v[139:140], v[151:152] offset1:1
	ds_write_b64 v170, v[178:179] offset:16
	s_waitcnt lgkmcnt(0)
	s_barrier
	ds_read_b64 v[139:140], v141 offset:15120
	ds_read2_b64 v[170:173], v143 offset0:56 offset1:191
	s_waitcnt lgkmcnt(1)
	v_mul_f32_e32 v151, v107, v140
	v_mul_f32_e32 v107, v107, v139
	v_fmac_f32_e32 v151, v106, v139
	v_fma_f32 v139, v106, v140, -v107
	s_waitcnt lgkmcnt(0)
	v_mul_f32_e32 v140, v105, v173
	v_mul_f32_e32 v105, v105, v172
	v_fmac_f32_e32 v140, v104, v172
	v_fma_f32 v152, v104, v173, -v105
	ds_read2_b64 v[104:107], v144 offset0:84 offset1:219
	v_mul_f32_e32 v153, v101, v171
	v_mul_f32_e32 v101, v101, v170
	v_fmac_f32_e32 v153, v100, v170
	v_fma_f32 v170, v100, v171, -v101
	s_waitcnt lgkmcnt(0)
	v_mul_f32_e32 v171, v103, v107
	v_mul_f32_e32 v100, v103, v106
	v_fmac_f32_e32 v171, v102, v106
	v_fma_f32 v106, v102, v107, -v100
	ds_read2_b64 v[100:103], v146 offset0:42 offset1:177
	v_mul_f32_e32 v107, v99, v105
	v_mul_f32_e32 v99, v99, v104
	v_fmac_f32_e32 v107, v98, v104
	v_fma_f32 v104, v98, v105, -v99
	s_waitcnt lgkmcnt(0)
	v_mul_f32_e32 v105, v97, v103
	v_mul_f32_e32 v97, v97, v102
	v_fmac_f32_e32 v105, v96, v102
	v_fma_f32 v102, v96, v103, -v97
	ds_read2_b64 v[96:99], v147 offset0:70 offset1:205
	v_mul_f32_e32 v103, v93, v101
	v_mul_f32_e32 v93, v93, v100
	v_fmac_f32_e32 v103, v92, v100
	v_fma_f32 v172, v92, v101, -v93
	s_waitcnt lgkmcnt(0)
	v_mul_f32_e32 v173, v95, v99
	v_mul_f32_e32 v92, v95, v98
	v_fmac_f32_e32 v173, v94, v98
	v_fma_f32 v174, v94, v99, -v92
	ds_read2_b64 v[92:95], v148 offset0:28 offset1:163
	v_mul_f32_e32 v100, v91, v97
	v_mul_f32_e32 v91, v91, v96
	v_fmac_f32_e32 v100, v90, v96
	v_fma_f32 v90, v90, v97, -v91
	ds_read2_b64 v[96:99], v141 offset1:135
	s_waitcnt lgkmcnt(1)
	v_mul_f32_e32 v91, v89, v95
	v_fmac_f32_e32 v91, v88, v94
	v_mul_f32_e32 v89, v89, v94
	v_fma_f32 v88, v88, v95, -v89
	s_waitcnt lgkmcnt(0)
	v_add_f32_e32 v89, v96, v91
	v_add_f32_e32 v94, v89, v100
	;; [unrolled: 1-line block ×4, first 2 shown]
	v_sub_f32_e32 v175, v88, v90
	v_add_f32_e32 v88, v88, v90
	v_add_f32_e32 v89, v91, v100
	v_fma_f32 v96, -0.5, v89, v96
	v_fma_f32 v97, -0.5, v88, v97
	v_sub_f32_e32 v176, v91, v100
	v_mov_b32_e32 v100, v96
	v_mov_b32_e32 v101, v97
	v_fmac_f32_e32 v100, 0xbf5db3d7, v175
	v_fmac_f32_e32 v101, 0x3f5db3d7, v176
	;; [unrolled: 1-line block ×4, first 2 shown]
	ds_read2_b64 v[88:91], v145 offset0:14 offset1:149
	s_waitcnt lgkmcnt(0)
	s_barrier
	ds_write2_b64 v167, v[94:95], v[100:101] offset1:3
	ds_write_b64 v167, v[96:97] offset:48
	v_add_f32_e32 v95, v103, v173
	v_add_f32_e32 v96, v172, v174
	;; [unrolled: 1-line block ×3, first 2 shown]
	v_fma_f32 v98, -0.5, v95, v98
	v_add_f32_e32 v95, v99, v172
	v_fmac_f32_e32 v99, -0.5, v96
	v_sub_f32_e32 v100, v172, v174
	v_sub_f32_e32 v101, v103, v173
	v_mov_b32_e32 v96, v98
	v_mov_b32_e32 v97, v99
	v_add_f32_e32 v94, v94, v173
	v_add_f32_e32 v95, v95, v174
	v_fmac_f32_e32 v96, 0xbf5db3d7, v100
	v_fmac_f32_e32 v97, 0x3f5db3d7, v101
	ds_write2_b64 v169, v[94:95], v[96:97] offset1:3
	v_add_f32_e32 v96, v102, v104
	v_add_f32_e32 v97, v105, v107
	v_fmac_f32_e32 v98, 0x3f5db3d7, v100
	v_fmac_f32_e32 v99, 0xbf5db3d7, v101
	v_add_f32_e32 v94, v88, v105
	v_add_f32_e32 v95, v89, v102
	v_fma_f32 v88, -0.5, v97, v88
	v_fma_f32 v89, -0.5, v96, v89
	ds_write_b64 v169, v[98:99] offset:48
	v_sub_f32_e32 v98, v102, v104
	v_sub_f32_e32 v99, v105, v107
	v_mov_b32_e32 v96, v88
	v_mov_b32_e32 v97, v89
	v_add_f32_e32 v94, v94, v107
	v_add_f32_e32 v95, v95, v104
	v_fmac_f32_e32 v96, 0xbf5db3d7, v98
	v_fmac_f32_e32 v97, 0x3f5db3d7, v99
	;; [unrolled: 1-line block ×4, first 2 shown]
	ds_write2_b64 v168, v[94:95], v[96:97] offset1:3
	ds_write_b64 v168, v[88:89] offset:48
	v_add_f32_e32 v89, v153, v171
	v_add_f32_e32 v94, v170, v106
	;; [unrolled: 1-line block ×3, first 2 shown]
	v_fma_f32 v90, -0.5, v89, v90
	v_add_f32_e32 v89, v91, v170
	v_fmac_f32_e32 v91, -0.5, v94
	v_sub_f32_e32 v96, v170, v106
	v_sub_f32_e32 v97, v153, v171
	v_mov_b32_e32 v94, v90
	v_mov_b32_e32 v95, v91
	v_add_f32_e32 v88, v88, v171
	v_add_f32_e32 v89, v89, v106
	v_fmac_f32_e32 v94, 0xbf5db3d7, v96
	v_fmac_f32_e32 v95, 0x3f5db3d7, v97
	;; [unrolled: 1-line block ×4, first 2 shown]
	ds_write2_b64 v165, v[88:89], v[94:95] offset1:3
	ds_write_b64 v165, v[90:91] offset:48
	v_add_f32_e32 v89, v140, v151
	v_add_f32_e32 v90, v152, v139
	;; [unrolled: 1-line block ×3, first 2 shown]
	v_fma_f32 v92, -0.5, v89, v92
	v_add_f32_e32 v89, v93, v152
	v_fmac_f32_e32 v93, -0.5, v90
	v_sub_f32_e32 v94, v152, v139
	v_sub_f32_e32 v95, v140, v151
	v_mov_b32_e32 v90, v92
	v_mov_b32_e32 v91, v93
	v_add_f32_e32 v88, v88, v151
	v_add_f32_e32 v89, v89, v139
	v_fmac_f32_e32 v90, 0xbf5db3d7, v94
	v_fmac_f32_e32 v91, 0x3f5db3d7, v95
	;; [unrolled: 1-line block ×4, first 2 shown]
	ds_write2_b64 v166, v[88:89], v[90:91] offset1:3
	ds_write_b64 v166, v[92:93] offset:48
	s_waitcnt lgkmcnt(0)
	s_barrier
	ds_read_b64 v[92:93], v141 offset:15120
	ds_read2_b64 v[88:91], v147 offset0:70 offset1:205
	s_waitcnt lgkmcnt(1)
	v_mul_f32_e32 v94, v87, v93
	v_mul_f32_e32 v87, v87, v92
	v_fmac_f32_e32 v94, v86, v92
	v_fma_f32 v92, v86, v93, -v87
	s_waitcnt lgkmcnt(0)
	v_mul_f32_e32 v93, v85, v91
	v_mul_f32_e32 v85, v85, v90
	v_fmac_f32_e32 v93, v84, v90
	v_fma_f32 v90, v84, v91, -v85
	ds_read2_b64 v[84:87], v144 offset0:84 offset1:219
	v_mul_f32_e32 v91, v77, v89
	v_mul_f32_e32 v77, v77, v88
	v_fmac_f32_e32 v91, v76, v88
	v_fma_f32 v88, v76, v89, -v77
	s_waitcnt lgkmcnt(0)
	v_mul_f32_e32 v89, v79, v87
	v_mul_f32_e32 v76, v79, v86
	v_fmac_f32_e32 v89, v78, v86
	v_fma_f32 v86, v78, v87, -v76
	ds_read2_b64 v[76:79], v143 offset0:56 offset1:191
	;; [unrolled: 10-line block ×3, first 2 shown]
	v_mul_f32_e32 v79, v83, v77
	v_fmac_f32_e32 v79, v82, v76
	v_mul_f32_e32 v76, v83, v76
	v_fma_f32 v82, v82, v77, -v76
	s_waitcnt lgkmcnt(0)
	v_mul_f32_e32 v83, v81, v75
	v_fmac_f32_e32 v83, v80, v74
	v_mul_f32_e32 v74, v81, v74
	v_fma_f32 v80, v80, v75, -v74
	ds_read2_b64 v[74:77], v146 offset0:42 offset1:177
	v_mul_f32_e32 v81, v69, v73
	v_mul_f32_e32 v69, v69, v72
	v_fmac_f32_e32 v81, v68, v72
	v_fma_f32 v95, v68, v73, -v69
	s_waitcnt lgkmcnt(0)
	v_mul_f32_e32 v96, v71, v77
	v_mul_f32_e32 v68, v71, v76
	v_fmac_f32_e32 v96, v70, v76
	v_fma_f32 v76, v70, v77, -v68
	ds_read2_b64 v[68:71], v145 offset0:14 offset1:149
	v_mul_f32_e32 v77, v67, v75
	v_mul_f32_e32 v67, v67, v74
	v_fmac_f32_e32 v77, v66, v74
	v_fma_f32 v97, v66, v75, -v67
	ds_read2_b64 v[72:75], v141 offset1:135
	s_waitcnt lgkmcnt(1)
	v_mul_f32_e32 v98, v65, v71
	v_mul_f32_e32 v65, v65, v70
	v_fmac_f32_e32 v98, v64, v70
	v_fma_f32 v99, v64, v71, -v65
	v_add_f32_e32 v66, v77, v85
	v_add_f32_e32 v67, v97, v78
	v_sub_f32_e32 v64, v98, v77
	v_sub_f32_e32 v65, v87, v85
	s_waitcnt lgkmcnt(0)
	v_fma_f32 v66, -0.5, v66, v72
	v_fma_f32 v67, -0.5, v67, v73
	v_sub_f32_e32 v70, v99, v97
	v_sub_f32_e32 v71, v84, v78
	v_add_f32_e32 v100, v64, v65
	v_add_f32_e32 v64, v72, v98
	v_add_f32_e32 v65, v73, v99
	v_add_f32_e32 v101, v70, v71
	v_sub_f32_e32 v102, v99, v84
	v_mov_b32_e32 v70, v66
	v_mov_b32_e32 v71, v67
	v_sub_f32_e32 v104, v98, v87
	v_add_f32_e32 v64, v64, v77
	v_add_f32_e32 v65, v65, v97
	v_fmac_f32_e32 v70, 0xbf737871, v102
	v_sub_f32_e32 v103, v97, v78
	v_fmac_f32_e32 v71, 0x3f737871, v104
	v_sub_f32_e32 v105, v77, v85
	v_add_f32_e32 v64, v64, v85
	v_add_f32_e32 v65, v65, v78
	v_fmac_f32_e32 v70, 0xbf167918, v103
	v_fmac_f32_e32 v71, 0x3f167918, v105
	v_add_f32_e32 v64, v64, v87
	v_add_f32_e32 v65, v65, v84
	v_fmac_f32_e32 v70, 0x3e9e377a, v100
	v_fmac_f32_e32 v71, 0x3e9e377a, v101
	s_barrier
	ds_write2_b64 v162, v[64:65], v[70:71] offset1:9
	v_sub_f32_e32 v64, v77, v98
	v_add_f32_e32 v65, v98, v87
	v_sub_f32_e32 v70, v85, v87
	v_add_f32_e32 v71, v64, v70
	v_fma_f32 v64, -0.5, v65, v72
	v_mov_b32_e32 v70, v64
	v_fmac_f32_e32 v70, 0x3f737871, v103
	v_fmac_f32_e32 v64, 0xbf737871, v103
	;; [unrolled: 1-line block ×4, first 2 shown]
	v_add_f32_e32 v65, v99, v84
	v_fmac_f32_e32 v70, 0x3e9e377a, v71
	v_fmac_f32_e32 v64, 0x3e9e377a, v71
	v_fma_f32 v65, -0.5, v65, v73
	v_sub_f32_e32 v71, v97, v99
	v_sub_f32_e32 v72, v78, v84
	v_add_f32_e32 v72, v71, v72
	v_mov_b32_e32 v71, v65
	v_fmac_f32_e32 v71, 0xbf737871, v105
	v_fmac_f32_e32 v65, 0x3f737871, v105
	;; [unrolled: 1-line block ×10, first 2 shown]
	ds_write2_b64 v162, v[70:71], v[64:65] offset0:18 offset1:27
	v_fmac_f32_e32 v66, 0x3e9e377a, v100
	v_fmac_f32_e32 v67, 0x3e9e377a, v101
	v_add_f32_e32 v64, v96, v91
	v_add_f32_e32 v65, v81, v89
	ds_write_b64 v162, v[66:67] offset:288
	v_add_f32_e32 v70, v74, v81
	v_fma_f32 v64, -0.5, v64, v74
	v_fma_f32 v74, -0.5, v65, v74
	v_sub_f32_e32 v65, v96, v81
	v_sub_f32_e32 v66, v91, v89
	v_add_f32_e32 v65, v65, v66
	v_sub_f32_e32 v72, v76, v88
	v_mov_b32_e32 v66, v74
	v_fmac_f32_e32 v66, 0x3f737871, v72
	v_sub_f32_e32 v73, v95, v86
	v_fmac_f32_e32 v74, 0xbf737871, v72
	v_fmac_f32_e32 v66, 0xbf167918, v73
	;; [unrolled: 1-line block ×5, first 2 shown]
	v_add_f32_e32 v65, v76, v88
	v_add_f32_e32 v67, v95, v86
	v_fma_f32 v65, -0.5, v65, v75
	v_add_f32_e32 v71, v75, v95
	v_fmac_f32_e32 v75, -0.5, v67
	v_sub_f32_e32 v67, v76, v95
	v_sub_f32_e32 v77, v88, v86
	v_add_f32_e32 v77, v67, v77
	v_mov_b32_e32 v67, v75
	v_sub_f32_e32 v78, v96, v91
	v_fmac_f32_e32 v67, 0xbf737871, v78
	v_sub_f32_e32 v84, v81, v89
	v_fmac_f32_e32 v75, 0x3f737871, v78
	v_fmac_f32_e32 v67, 0x3f167918, v84
	;; [unrolled: 1-line block ×5, first 2 shown]
	ds_write2_b64 v163, v[66:67], v[74:75] offset0:18 offset1:27
	v_add_f32_e32 v66, v70, v96
	v_sub_f32_e32 v67, v81, v96
	v_sub_f32_e32 v70, v89, v91
	v_add_f32_e32 v74, v67, v70
	v_add_f32_e32 v67, v71, v76
	v_sub_f32_e32 v70, v95, v76
	v_sub_f32_e32 v71, v86, v88
	v_add_f32_e32 v75, v70, v71
	v_mov_b32_e32 v70, v64
	v_mov_b32_e32 v71, v65
	v_fmac_f32_e32 v64, 0x3f737871, v73
	v_fmac_f32_e32 v65, 0xbf737871, v84
	;; [unrolled: 1-line block ×6, first 2 shown]
	v_add_f32_e32 v66, v66, v91
	v_add_f32_e32 v67, v67, v88
	v_fmac_f32_e32 v70, 0xbf167918, v72
	v_fmac_f32_e32 v71, 0x3f167918, v78
	;; [unrolled: 1-line block ×4, first 2 shown]
	v_add_f32_e32 v66, v66, v89
	v_add_f32_e32 v67, v67, v86
	v_fmac_f32_e32 v70, 0x3e9e377a, v74
	v_fmac_f32_e32 v71, 0x3e9e377a, v75
	ds_write_b64 v163, v[64:65] offset:288
	v_add_f32_e32 v64, v79, v93
	v_add_f32_e32 v65, v83, v94
	ds_write2_b64 v163, v[66:67], v[70:71] offset1:9
	v_add_f32_e32 v70, v68, v83
	v_fma_f32 v64, -0.5, v64, v68
	v_fma_f32 v68, -0.5, v65, v68
	v_sub_f32_e32 v65, v79, v83
	v_sub_f32_e32 v66, v93, v94
	v_add_f32_e32 v65, v65, v66
	v_sub_f32_e32 v71, v82, v90
	v_mov_b32_e32 v66, v68
	v_fmac_f32_e32 v66, 0x3f737871, v71
	v_sub_f32_e32 v72, v80, v92
	v_fmac_f32_e32 v68, 0xbf737871, v71
	v_fmac_f32_e32 v66, 0xbf167918, v72
	;; [unrolled: 1-line block ×5, first 2 shown]
	v_add_f32_e32 v65, v82, v90
	v_add_f32_e32 v67, v80, v92
	v_fma_f32 v65, -0.5, v65, v69
	v_add_f32_e32 v73, v69, v80
	v_fmac_f32_e32 v69, -0.5, v67
	v_sub_f32_e32 v67, v82, v80
	v_sub_f32_e32 v74, v90, v92
	v_add_f32_e32 v74, v67, v74
	v_mov_b32_e32 v67, v69
	v_sub_f32_e32 v75, v79, v93
	v_fmac_f32_e32 v67, 0xbf737871, v75
	v_sub_f32_e32 v76, v83, v94
	v_fmac_f32_e32 v69, 0x3f737871, v75
	v_fmac_f32_e32 v67, 0x3f167918, v76
	;; [unrolled: 1-line block ×5, first 2 shown]
	ds_write2_b64 v164, v[66:67], v[68:69] offset0:18 offset1:27
	v_sub_f32_e32 v67, v83, v79
	v_sub_f32_e32 v68, v94, v93
	v_add_f32_e32 v66, v70, v79
	v_add_f32_e32 v70, v67, v68
	v_sub_f32_e32 v68, v80, v82
	v_sub_f32_e32 v69, v92, v90
	v_add_f32_e32 v67, v73, v82
	v_add_f32_e32 v73, v68, v69
	v_mov_b32_e32 v68, v64
	v_mov_b32_e32 v69, v65
	v_fmac_f32_e32 v68, 0xbf737871, v72
	v_fmac_f32_e32 v69, 0x3f737871, v76
	;; [unrolled: 1-line block ×4, first 2 shown]
	v_add_f32_e32 v66, v66, v93
	v_add_f32_e32 v67, v67, v90
	v_fmac_f32_e32 v68, 0xbf167918, v71
	v_fmac_f32_e32 v69, 0x3f167918, v75
	;; [unrolled: 1-line block ×4, first 2 shown]
	v_add_f32_e32 v66, v66, v94
	v_add_f32_e32 v67, v67, v92
	v_fmac_f32_e32 v68, 0x3e9e377a, v70
	v_fmac_f32_e32 v69, 0x3e9e377a, v73
	;; [unrolled: 1-line block ×4, first 2 shown]
	ds_write2_b64 v164, v[66:67], v[68:69] offset1:9
	ds_write_b64 v164, v[64:65] offset:288
	s_waitcnt lgkmcnt(0)
	s_barrier
	ds_read_b64 v[68:69], v141 offset:15120
	ds_read2_b64 v[64:67], v147 offset0:70 offset1:205
	s_waitcnt lgkmcnt(1)
	v_mul_f32_e32 v70, v63, v69
	v_mul_f32_e32 v63, v63, v68
	v_fmac_f32_e32 v70, v62, v68
	v_fma_f32 v68, v62, v69, -v63
	s_waitcnt lgkmcnt(0)
	v_mul_f32_e32 v69, v61, v67
	v_mul_f32_e32 v61, v61, v66
	v_fmac_f32_e32 v69, v60, v66
	v_fma_f32 v66, v60, v67, -v61
	ds_read2_b64 v[60:63], v144 offset0:84 offset1:219
	v_mul_f32_e32 v67, v45, v65
	v_mul_f32_e32 v45, v45, v64
	v_fmac_f32_e32 v67, v44, v64
	v_fma_f32 v64, v44, v65, -v45
	s_waitcnt lgkmcnt(0)
	v_mul_f32_e32 v65, v47, v63
	v_mul_f32_e32 v44, v47, v62
	v_fmac_f32_e32 v65, v46, v62
	v_fma_f32 v62, v46, v63, -v44
	ds_read2_b64 v[44:47], v143 offset0:56 offset1:191
	;; [unrolled: 10-line block ×3, first 2 shown]
	v_mul_f32_e32 v47, v59, v45
	v_fmac_f32_e32 v47, v58, v44
	v_mul_f32_e32 v44, v59, v44
	v_fma_f32 v58, v58, v45, -v44
	s_waitcnt lgkmcnt(0)
	v_mul_f32_e32 v59, v57, v43
	v_fmac_f32_e32 v59, v56, v42
	v_mul_f32_e32 v42, v57, v42
	v_fma_f32 v56, v56, v43, -v42
	ds_read2_b64 v[42:45], v146 offset0:42 offset1:177
	v_mul_f32_e32 v57, v37, v41
	v_mul_f32_e32 v37, v37, v40
	v_fmac_f32_e32 v57, v36, v40
	v_fma_f32 v71, v36, v41, -v37
	s_waitcnt lgkmcnt(0)
	v_mul_f32_e32 v72, v39, v45
	v_mul_f32_e32 v36, v39, v44
	v_fmac_f32_e32 v72, v38, v44
	v_fma_f32 v44, v38, v45, -v36
	ds_read2_b64 v[36:39], v145 offset0:14 offset1:149
	v_mul_f32_e32 v45, v35, v43
	v_mul_f32_e32 v35, v35, v42
	v_fmac_f32_e32 v45, v34, v42
	v_fma_f32 v73, v34, v43, -v35
	ds_read2_b64 v[40:43], v141 offset1:135
	s_waitcnt lgkmcnt(1)
	v_mul_f32_e32 v74, v33, v39
	v_mul_f32_e32 v33, v33, v38
	v_fmac_f32_e32 v74, v32, v38
	v_fma_f32 v75, v32, v39, -v33
	v_add_f32_e32 v34, v45, v61
	v_add_f32_e32 v35, v73, v46
	v_sub_f32_e32 v32, v74, v45
	v_sub_f32_e32 v33, v63, v61
	s_waitcnt lgkmcnt(0)
	v_fma_f32 v34, -0.5, v34, v40
	v_fma_f32 v35, -0.5, v35, v41
	v_sub_f32_e32 v38, v75, v73
	v_sub_f32_e32 v39, v60, v46
	v_add_f32_e32 v76, v32, v33
	v_add_f32_e32 v32, v40, v74
	;; [unrolled: 1-line block ×4, first 2 shown]
	v_sub_f32_e32 v78, v75, v60
	v_mov_b32_e32 v38, v34
	v_mov_b32_e32 v39, v35
	v_sub_f32_e32 v80, v74, v63
	v_add_f32_e32 v32, v32, v45
	v_add_f32_e32 v33, v33, v73
	v_fmac_f32_e32 v38, 0xbf737871, v78
	v_sub_f32_e32 v79, v73, v46
	v_fmac_f32_e32 v39, 0x3f737871, v80
	v_sub_f32_e32 v81, v45, v61
	v_add_f32_e32 v32, v32, v61
	v_add_f32_e32 v33, v33, v46
	v_fmac_f32_e32 v38, 0xbf167918, v79
	v_fmac_f32_e32 v39, 0x3f167918, v81
	v_add_f32_e32 v32, v32, v63
	v_add_f32_e32 v33, v33, v60
	v_fmac_f32_e32 v38, 0x3e9e377a, v76
	v_fmac_f32_e32 v39, 0x3e9e377a, v77
	s_barrier
	ds_write2_b64 v154, v[32:33], v[38:39] offset1:45
	v_sub_f32_e32 v32, v45, v74
	v_add_f32_e32 v33, v74, v63
	v_sub_f32_e32 v38, v61, v63
	v_add_f32_e32 v39, v32, v38
	v_fma_f32 v32, -0.5, v33, v40
	v_mov_b32_e32 v38, v32
	v_fmac_f32_e32 v38, 0x3f737871, v79
	v_fmac_f32_e32 v32, 0xbf737871, v79
	;; [unrolled: 1-line block ×4, first 2 shown]
	v_add_f32_e32 v33, v75, v60
	v_fmac_f32_e32 v38, 0x3e9e377a, v39
	v_fmac_f32_e32 v32, 0x3e9e377a, v39
	v_fma_f32 v33, -0.5, v33, v41
	v_sub_f32_e32 v39, v73, v75
	v_sub_f32_e32 v40, v46, v60
	v_add_f32_e32 v40, v39, v40
	v_mov_b32_e32 v39, v33
	v_fmac_f32_e32 v39, 0xbf737871, v81
	v_fmac_f32_e32 v33, 0x3f737871, v81
	;; [unrolled: 1-line block ×10, first 2 shown]
	ds_write2_b64 v154, v[38:39], v[32:33] offset0:90 offset1:135
	v_fmac_f32_e32 v34, 0x3e9e377a, v76
	v_fmac_f32_e32 v35, 0x3e9e377a, v77
	v_add_f32_e32 v32, v72, v67
	v_add_f32_e32 v33, v57, v65
	ds_write_b64 v154, v[34:35] offset:1440
	v_add_f32_e32 v38, v42, v57
	v_fma_f32 v32, -0.5, v32, v42
	v_fma_f32 v42, -0.5, v33, v42
	v_sub_f32_e32 v33, v72, v57
	v_sub_f32_e32 v34, v67, v65
	v_add_f32_e32 v33, v33, v34
	v_sub_f32_e32 v40, v44, v64
	v_mov_b32_e32 v34, v42
	v_fmac_f32_e32 v34, 0x3f737871, v40
	v_sub_f32_e32 v41, v71, v62
	v_fmac_f32_e32 v42, 0xbf737871, v40
	v_fmac_f32_e32 v34, 0xbf167918, v41
	;; [unrolled: 1-line block ×5, first 2 shown]
	v_add_f32_e32 v33, v44, v64
	v_add_f32_e32 v35, v71, v62
	v_fma_f32 v33, -0.5, v33, v43
	v_add_f32_e32 v39, v43, v71
	v_fmac_f32_e32 v43, -0.5, v35
	v_sub_f32_e32 v35, v44, v71
	v_sub_f32_e32 v45, v64, v62
	v_add_f32_e32 v45, v35, v45
	v_mov_b32_e32 v35, v43
	v_sub_f32_e32 v46, v72, v67
	v_fmac_f32_e32 v35, 0xbf737871, v46
	v_sub_f32_e32 v60, v57, v65
	v_fmac_f32_e32 v43, 0x3f737871, v46
	v_fmac_f32_e32 v35, 0x3f167918, v60
	;; [unrolled: 1-line block ×5, first 2 shown]
	ds_write2_b64 v155, v[34:35], v[42:43] offset0:90 offset1:135
	v_add_f32_e32 v34, v38, v72
	v_sub_f32_e32 v35, v57, v72
	v_sub_f32_e32 v38, v65, v67
	v_add_f32_e32 v42, v35, v38
	v_add_f32_e32 v35, v39, v44
	v_sub_f32_e32 v38, v71, v44
	v_sub_f32_e32 v39, v62, v64
	v_add_f32_e32 v43, v38, v39
	v_mov_b32_e32 v38, v32
	v_mov_b32_e32 v39, v33
	v_fmac_f32_e32 v32, 0x3f737871, v41
	v_fmac_f32_e32 v33, 0xbf737871, v60
	;; [unrolled: 1-line block ×6, first 2 shown]
	v_add_f32_e32 v34, v34, v67
	v_add_f32_e32 v35, v35, v64
	v_fmac_f32_e32 v38, 0xbf167918, v40
	v_fmac_f32_e32 v39, 0x3f167918, v46
	;; [unrolled: 1-line block ×4, first 2 shown]
	v_add_f32_e32 v34, v34, v65
	v_add_f32_e32 v35, v35, v62
	v_fmac_f32_e32 v38, 0x3e9e377a, v42
	v_fmac_f32_e32 v39, 0x3e9e377a, v43
	ds_write_b64 v155, v[32:33] offset:1440
	v_add_f32_e32 v32, v47, v69
	v_add_f32_e32 v33, v59, v70
	ds_write2_b64 v155, v[34:35], v[38:39] offset1:45
	v_add_f32_e32 v38, v36, v59
	v_fma_f32 v32, -0.5, v32, v36
	v_fma_f32 v36, -0.5, v33, v36
	v_sub_f32_e32 v33, v47, v59
	v_sub_f32_e32 v34, v69, v70
	v_add_f32_e32 v33, v33, v34
	v_sub_f32_e32 v39, v58, v66
	v_mov_b32_e32 v34, v36
	v_fmac_f32_e32 v34, 0x3f737871, v39
	v_sub_f32_e32 v40, v56, v68
	v_fmac_f32_e32 v36, 0xbf737871, v39
	v_fmac_f32_e32 v34, 0xbf167918, v40
	;; [unrolled: 1-line block ×5, first 2 shown]
	v_add_f32_e32 v33, v58, v66
	v_add_f32_e32 v35, v56, v68
	v_fma_f32 v33, -0.5, v33, v37
	v_add_f32_e32 v41, v37, v56
	v_fmac_f32_e32 v37, -0.5, v35
	v_sub_f32_e32 v35, v58, v56
	v_sub_f32_e32 v42, v66, v68
	v_add_f32_e32 v42, v35, v42
	v_mov_b32_e32 v35, v37
	v_sub_f32_e32 v43, v47, v69
	v_fmac_f32_e32 v35, 0xbf737871, v43
	v_sub_f32_e32 v44, v59, v70
	v_fmac_f32_e32 v37, 0x3f737871, v43
	v_fmac_f32_e32 v35, 0x3f167918, v44
	;; [unrolled: 1-line block ×5, first 2 shown]
	ds_write2_b64 v156, v[34:35], v[36:37] offset0:90 offset1:135
	v_sub_f32_e32 v35, v59, v47
	v_sub_f32_e32 v36, v70, v69
	v_add_f32_e32 v34, v38, v47
	v_add_f32_e32 v38, v35, v36
	v_sub_f32_e32 v36, v56, v58
	v_sub_f32_e32 v37, v68, v66
	v_add_f32_e32 v35, v41, v58
	v_add_f32_e32 v41, v36, v37
	v_mov_b32_e32 v36, v32
	v_mov_b32_e32 v37, v33
	v_fmac_f32_e32 v36, 0xbf737871, v40
	v_fmac_f32_e32 v37, 0x3f737871, v44
	;; [unrolled: 1-line block ×4, first 2 shown]
	v_add_f32_e32 v34, v34, v69
	v_add_f32_e32 v35, v35, v66
	v_fmac_f32_e32 v36, 0xbf167918, v39
	v_fmac_f32_e32 v37, 0x3f167918, v43
	;; [unrolled: 1-line block ×4, first 2 shown]
	v_add_f32_e32 v34, v34, v70
	v_add_f32_e32 v35, v35, v68
	v_fmac_f32_e32 v36, 0x3e9e377a, v38
	v_fmac_f32_e32 v37, 0x3e9e377a, v41
	;; [unrolled: 1-line block ×4, first 2 shown]
	ds_write2_b64 v156, v[34:35], v[36:37] offset1:45
	ds_write_b64 v156, v[32:33] offset:1440
	s_waitcnt lgkmcnt(0)
	s_barrier
	ds_read_b64 v[36:37], v141 offset:15120
	ds_read2_b64 v[32:35], v143 offset0:56 offset1:191
	s_waitcnt lgkmcnt(1)
	v_mul_f32_e32 v38, v19, v37
	v_mul_f32_e32 v19, v19, v36
	v_fmac_f32_e32 v38, v18, v36
	v_fma_f32 v36, v18, v37, -v19
	s_waitcnt lgkmcnt(0)
	v_mul_f32_e32 v37, v17, v35
	v_mul_f32_e32 v17, v17, v34
	v_fmac_f32_e32 v37, v16, v34
	v_fma_f32 v34, v16, v35, -v17
	ds_read2_b64 v[16:19], v144 offset0:84 offset1:219
	v_mul_f32_e32 v35, v13, v33
	v_mul_f32_e32 v13, v13, v32
	v_fmac_f32_e32 v35, v12, v32
	v_fma_f32 v32, v12, v33, -v13
	s_waitcnt lgkmcnt(0)
	v_mul_f32_e32 v33, v15, v19
	v_mul_f32_e32 v12, v15, v18
	v_fmac_f32_e32 v33, v14, v18
	v_fma_f32 v18, v14, v19, -v12
	ds_read2_b64 v[12:15], v146 offset0:42 offset1:177
	;; [unrolled: 10-line block ×4, first 2 shown]
	v_mul_f32_e32 v12, v3, v9
	v_mul_f32_e32 v3, v3, v8
	v_fmac_f32_e32 v12, v2, v8
	v_fma_f32 v2, v2, v9, -v3
	ds_read2_b64 v[8:11], v141 offset1:135
	s_waitcnt lgkmcnt(1)
	v_mul_f32_e32 v3, v1, v7
	v_fmac_f32_e32 v3, v0, v6
	v_mul_f32_e32 v1, v1, v6
	v_fma_f32 v0, v0, v7, -v1
	s_waitcnt lgkmcnt(0)
	v_add_f32_e32 v1, v8, v3
	v_add_f32_e32 v6, v1, v12
	;; [unrolled: 1-line block ×4, first 2 shown]
	v_sub_f32_e32 v42, v0, v2
	v_add_f32_e32 v0, v0, v2
	v_add_f32_e32 v1, v3, v12
	v_fma_f32 v8, -0.5, v1, v8
	v_fma_f32 v9, -0.5, v0, v9
	v_sub_f32_e32 v43, v3, v12
	v_mov_b32_e32 v12, v8
	v_mov_b32_e32 v13, v9
	v_fmac_f32_e32 v12, 0xbf5db3d7, v42
	v_fmac_f32_e32 v13, 0x3f5db3d7, v43
	v_fmac_f32_e32 v8, 0x3f5db3d7, v42
	v_fmac_f32_e32 v9, 0xbf5db3d7, v43
	ds_read2_b64 v[0:3], v145 offset0:14 offset1:149
	s_waitcnt lgkmcnt(0)
	s_barrier
	ds_write2_b64 v141, v[6:7], v[12:13] offset1:225
	ds_write_b64 v141, v[8:9] offset:3600
	v_add_f32_e32 v7, v15, v40
	v_add_f32_e32 v8, v39, v41
	;; [unrolled: 1-line block ×3, first 2 shown]
	v_fma_f32 v10, -0.5, v7, v10
	v_add_f32_e32 v7, v11, v39
	v_fmac_f32_e32 v11, -0.5, v8
	v_sub_f32_e32 v12, v39, v41
	v_sub_f32_e32 v13, v15, v40
	v_mov_b32_e32 v8, v10
	v_mov_b32_e32 v9, v11
	v_add_f32_e32 v6, v6, v40
	v_add_f32_e32 v7, v7, v41
	v_fmac_f32_e32 v8, 0xbf5db3d7, v12
	v_fmac_f32_e32 v9, 0x3f5db3d7, v13
	ds_write2_b64 v157, v[6:7], v[8:9] offset1:225
	v_add_f32_e32 v8, v14, v16
	v_add_f32_e32 v9, v17, v19
	v_fmac_f32_e32 v10, 0x3f5db3d7, v12
	v_fmac_f32_e32 v11, 0xbf5db3d7, v13
	v_add_f32_e32 v6, v0, v17
	v_add_f32_e32 v7, v1, v14
	v_fma_f32 v0, -0.5, v9, v0
	v_fma_f32 v1, -0.5, v8, v1
	ds_write_b64 v157, v[10:11] offset:3600
	v_sub_f32_e32 v10, v14, v16
	v_sub_f32_e32 v11, v17, v19
	v_mov_b32_e32 v8, v0
	v_mov_b32_e32 v9, v1
	v_add_f32_e32 v6, v6, v19
	v_add_f32_e32 v7, v7, v16
	v_fmac_f32_e32 v8, 0xbf5db3d7, v10
	v_fmac_f32_e32 v9, 0x3f5db3d7, v11
	;; [unrolled: 1-line block ×4, first 2 shown]
	ds_write2_b64 v160, v[6:7], v[8:9] offset0:16 offset1:241
	ds_write_b64 v141, v[0:1] offset:9360
	v_add_f32_e32 v1, v35, v33
	v_add_f32_e32 v6, v32, v18
	;; [unrolled: 1-line block ×3, first 2 shown]
	v_fma_f32 v2, -0.5, v1, v2
	v_add_f32_e32 v1, v3, v32
	v_fmac_f32_e32 v3, -0.5, v6
	v_sub_f32_e32 v8, v32, v18
	v_sub_f32_e32 v9, v35, v33
	v_mov_b32_e32 v6, v2
	v_mov_b32_e32 v7, v3
	v_add_f32_e32 v0, v0, v33
	v_add_f32_e32 v1, v1, v18
	v_fmac_f32_e32 v6, 0xbf5db3d7, v8
	v_fmac_f32_e32 v7, 0x3f5db3d7, v9
	ds_write2_b64 v158, v[0:1], v[6:7] offset1:225
	v_add_f32_e32 v0, v37, v38
	v_add_f32_e32 v1, v4, v37
	v_fma_f32 v4, -0.5, v0, v4
	v_sub_f32_e32 v6, v34, v36
	v_mov_b32_e32 v0, v4
	v_fmac_f32_e32 v0, 0xbf5db3d7, v6
	v_fmac_f32_e32 v4, 0x3f5db3d7, v6
	v_add_f32_e32 v6, v1, v38
	v_add_f32_e32 v1, v5, v34
	v_add_f32_e32 v7, v1, v36
	v_add_f32_e32 v1, v34, v36
	v_fmac_f32_e32 v5, -0.5, v1
	v_fmac_f32_e32 v2, 0x3f5db3d7, v8
	v_sub_f32_e32 v8, v37, v38
	v_mov_b32_e32 v1, v5
	v_fmac_f32_e32 v3, 0xbf5db3d7, v9
	v_fmac_f32_e32 v1, 0x3f5db3d7, v8
	;; [unrolled: 1-line block ×3, first 2 shown]
	ds_write_b64 v158, v[2:3] offset:3600
	ds_write2_b64 v161, v[6:7], v[0:1] offset0:6 offset1:231
	ds_write_b64 v159, v[4:5] offset:14400
	s_waitcnt lgkmcnt(0)
	s_barrier
	ds_read2_b64 v[0:3], v148 offset0:28 offset1:163
	ds_read2_b64 v[4:7], v141 offset1:135
	ds_read2_b64 v[8:11], v147 offset0:70 offset1:205
	ds_read2_b64 v[12:15], v146 offset0:42 offset1:177
	s_waitcnt lgkmcnt(3)
	v_mul_f32_e32 v16, v25, v3
	v_fmac_f32_e32 v16, v24, v2
	v_mul_f32_e32 v2, v25, v2
	v_fma_f32 v17, v24, v3, -v2
	s_waitcnt lgkmcnt(1)
	v_mul_f32_e32 v2, v27, v8
	v_mul_f32_e32 v18, v27, v9
	v_fma_f32 v19, v26, v9, -v2
	v_mul_f32_e32 v24, v23, v11
	v_mul_f32_e32 v2, v23, v10
	v_fmac_f32_e32 v18, v26, v8
	v_fmac_f32_e32 v24, v22, v10
	v_fma_f32 v22, v22, v11, -v2
	ds_read2_b64 v[8:11], v144 offset0:84 offset1:219
	s_waitcnt lgkmcnt(1)
	v_mul_f32_e32 v23, v21, v13
	v_mul_f32_e32 v2, v21, v12
	v_fmac_f32_e32 v23, v20, v12
	v_fma_f32 v20, v20, v13, -v2
	v_mul_f32_e32 v2, v29, v14
	v_fma_f32 v25, v28, v15, -v2
	s_waitcnt lgkmcnt(0)
	v_mul_f32_e32 v2, v31, v8
	v_fma_f32 v27, v30, v9, -v2
	v_mul_f32_e32 v2, v51, v10
	v_mul_f32_e32 v21, v29, v15
	v_fma_f32 v29, v50, v11, -v2
	ds_read_b64 v[2:3], v141 offset:15120
	v_fmac_f32_e32 v21, v28, v14
	ds_read2_b64 v[12:15], v143 offset0:56 offset1:191
	v_mul_f32_e32 v26, v31, v9
	v_fmac_f32_e32 v26, v30, v8
	s_waitcnt lgkmcnt(1)
	v_mul_f32_e32 v34, v55, v3
	v_fmac_f32_e32 v34, v54, v2
	s_waitcnt lgkmcnt(0)
	v_mul_f32_e32 v8, v49, v12
	v_mul_f32_e32 v2, v55, v2
	v_fma_f32 v31, v48, v13, -v8
	v_mul_f32_e32 v8, v53, v14
	v_fma_f32 v35, v54, v3, -v2
	v_add_f32_e32 v2, v4, v16
	v_mul_f32_e32 v28, v51, v11
	v_fma_f32 v33, v52, v15, -v8
	v_add_f32_e32 v8, v2, v18
	v_add_f32_e32 v2, v16, v18
	v_fmac_f32_e32 v28, v50, v10
	v_mul_f32_e32 v30, v49, v13
	v_fma_f32 v10, -0.5, v2, v4
	v_fmac_f32_e32 v30, v48, v12
	v_sub_f32_e32 v2, v17, v19
	v_mov_b32_e32 v12, v10
	v_fmac_f32_e32 v12, 0xbf5db3d7, v2
	v_fmac_f32_e32 v10, 0x3f5db3d7, v2
	v_add_f32_e32 v2, v5, v17
	v_add_f32_e32 v9, v2, v19
	;; [unrolled: 1-line block ×3, first 2 shown]
	v_fma_f32 v11, -0.5, v2, v5
	v_sub_f32_e32 v2, v16, v18
	v_mov_b32_e32 v13, v11
	v_mul_f32_e32 v32, v53, v15
	v_fmac_f32_e32 v13, 0x3f5db3d7, v2
	v_fmac_f32_e32 v11, 0xbf5db3d7, v2
	v_add_f32_e32 v2, v6, v23
	v_fmac_f32_e32 v32, v52, v14
	v_add_f32_e32 v14, v2, v24
	v_add_f32_e32 v2, v23, v24
	v_fma_f32 v6, -0.5, v2, v6
	v_sub_f32_e32 v2, v20, v22
	v_mov_b32_e32 v16, v6
	v_fmac_f32_e32 v16, 0xbf5db3d7, v2
	v_fmac_f32_e32 v6, 0x3f5db3d7, v2
	v_add_f32_e32 v2, v7, v20
	v_add_f32_e32 v15, v2, v22
	ds_read2_b64 v[2:5], v145 offset0:14 offset1:149
	v_add_f32_e32 v17, v20, v22
	v_fmac_f32_e32 v7, -0.5, v17
	v_sub_f32_e32 v18, v23, v24
	v_mov_b32_e32 v17, v7
	v_fmac_f32_e32 v17, 0x3f5db3d7, v18
	v_fmac_f32_e32 v7, 0xbf5db3d7, v18
	v_add_f32_e32 v18, v21, v26
	s_waitcnt lgkmcnt(0)
	v_fma_f32 v18, -0.5, v18, v2
	v_add_f32_e32 v2, v2, v21
	v_add_f32_e32 v22, v2, v26
	;; [unrolled: 1-line block ×3, first 2 shown]
	v_sub_f32_e32 v19, v25, v27
	v_mov_b32_e32 v20, v18
	v_add_f32_e32 v23, v2, v27
	v_add_f32_e32 v2, v25, v27
	v_fmac_f32_e32 v20, 0xbf5db3d7, v19
	v_fmac_f32_e32 v18, 0x3f5db3d7, v19
	v_fma_f32 v19, -0.5, v2, v3
	v_sub_f32_e32 v2, v21, v26
	v_mov_b32_e32 v21, v19
	v_fmac_f32_e32 v21, 0x3f5db3d7, v2
	v_fmac_f32_e32 v19, 0xbf5db3d7, v2
	v_add_f32_e32 v2, v30, v28
	v_add_f32_e32 v3, v4, v30
	v_fma_f32 v4, -0.5, v2, v4
	v_sub_f32_e32 v24, v31, v29
	v_mov_b32_e32 v2, v4
	v_fmac_f32_e32 v2, 0xbf5db3d7, v24
	v_fmac_f32_e32 v4, 0x3f5db3d7, v24
	v_add_f32_e32 v24, v3, v28
	v_add_f32_e32 v3, v5, v31
	;; [unrolled: 1-line block ×4, first 2 shown]
	v_fmac_f32_e32 v5, -0.5, v3
	v_sub_f32_e32 v26, v30, v28
	v_mov_b32_e32 v3, v5
	v_fmac_f32_e32 v3, 0x3f5db3d7, v26
	v_fmac_f32_e32 v5, 0xbf5db3d7, v26
	v_add_f32_e32 v26, v32, v34
	v_add_f32_e32 v27, v0, v32
	v_fma_f32 v0, -0.5, v26, v0
	v_sub_f32_e32 v28, v33, v35
	v_mov_b32_e32 v26, v0
	v_fmac_f32_e32 v26, 0xbf5db3d7, v28
	v_fmac_f32_e32 v0, 0x3f5db3d7, v28
	v_add_f32_e32 v28, v27, v34
	v_add_f32_e32 v27, v1, v33
	;; [unrolled: 1-line block ×4, first 2 shown]
	v_fmac_f32_e32 v1, -0.5, v27
	v_sub_f32_e32 v30, v32, v34
	v_mov_b32_e32 v27, v1
	v_fmac_f32_e32 v27, 0x3f5db3d7, v30
	v_fmac_f32_e32 v1, 0xbf5db3d7, v30
	v_mad_u64_u32 v[30:31], s[6:7], s2, v128, 0
	ds_write_b64 v141, v[12:13] offset:5400
	ds_write_b64 v141, v[10:11] offset:10800
	ds_write2_b64 v141, v[8:9], v[14:15] offset1:135
	ds_write2_b64 v146, v[16:17], v[20:21] offset0:42 offset1:177
	ds_write2_b64 v149, v[6:7], v[18:19] offset0:77 offset1:212
	;; [unrolled: 1-line block ×3, first 2 shown]
	ds_write_b64 v141, v[28:29] offset:4320
	ds_write2_b64 v143, v[2:3], v[26:27] offset0:56 offset1:191
	ds_write2_b64 v150, v[4:5], v[0:1] offset0:91 offset1:226
	s_waitcnt lgkmcnt(0)
	s_barrier
	ds_read2_b64 v[0:3], v141 offset1:135
	v_mov_b32_e32 v4, v31
	v_mad_u64_u32 v[4:5], s[2:3], s3, v128, v[4:5]
	s_mov_b32 s2, 0xc0898b71
	s_waitcnt lgkmcnt(0)
	v_mul_f32_e32 v5, v134, v1
	v_fmac_f32_e32 v5, v133, v0
	v_cvt_f64_f32_e32 v[5:6], v5
	s_mov_b32 s3, 0x3f402e85
	v_mad_u64_u32 v[8:9], s[6:7], s0, v142, 0
	v_mul_f64 v[5:6], v[5:6], s[2:3]
	v_mul_f32_e32 v0, v134, v0
	v_fma_f32 v0, v133, v1, -v0
	v_mov_b32_e32 v31, v4
	v_mov_b32_e32 v4, v9
	v_cvt_f64_f32_e32 v[0:1], v0
	v_mov_b32_e32 v14, s5
	s_mul_hi_u32 s5, s0, 0x1518
	v_mad_u64_u32 v[9:10], s[6:7], s1, v142, v[4:5]
	v_cvt_f32_f64_e32 v10, v[5:6]
	ds_read2_b64 v[4:7], v148 offset0:28 offset1:163
	v_mul_f64 v[0:1], v[0:1], s[2:3]
	s_mul_hi_u32 s6, s0, 0xffffda08
	s_sub_i32 s6, s6, s0
	s_waitcnt lgkmcnt(0)
	v_mul_f32_e32 v12, v130, v7
	v_fmac_f32_e32 v12, v129, v6
	v_cvt_f64_f32_e32 v[12:13], v12
	v_mul_f32_e32 v6, v130, v6
	v_fma_f32 v6, v129, v7, -v6
	v_cvt_f64_f32_e32 v[6:7], v6
	v_cvt_f32_f64_e32 v11, v[0:1]
	v_lshlrev_b64 v[0:1], 3, v[30:31]
	v_mul_f64 v[12:13], v[12:13], s[2:3]
	v_add_co_u32_e32 v16, vcc, s4, v0
	v_addc_co_u32_e32 v17, vcc, v14, v1, vcc
	v_lshlrev_b64 v[0:1], 3, v[8:9]
	v_mul_f64 v[14:15], v[6:7], s[2:3]
	ds_read2_b64 v[6:9], v147 offset0:70 offset1:205
	v_add_co_u32_e32 v0, vcc, v16, v0
	v_addc_co_u32_e32 v1, vcc, v17, v1, vcc
	global_store_dwordx2 v[0:1], v[10:11], off
	v_cvt_f32_f64_e32 v10, v[12:13]
	s_waitcnt lgkmcnt(0)
	v_mul_f32_e32 v12, v138, v7
	v_fmac_f32_e32 v12, v137, v6
	v_cvt_f64_f32_e32 v[12:13], v12
	v_mul_f32_e32 v6, v138, v6
	v_fma_f32 v6, v137, v7, -v6
	v_cvt_f64_f32_e32 v[6:7], v6
	v_mul_f64 v[12:13], v[12:13], s[2:3]
	v_cvt_f32_f64_e32 v11, v[14:15]
	s_mul_i32 s4, s1, 0x1518
	s_add_i32 s4, s5, s4
	s_mul_i32 s5, s0, 0x1518
	v_mov_b32_e32 v14, s4
	v_add_co_u32_e32 v0, vcc, s5, v0
	v_addc_co_u32_e32 v1, vcc, v1, v14, vcc
	v_mul_f64 v[6:7], v[6:7], s[2:3]
	global_store_dwordx2 v[0:1], v[10:11], off
	v_mul_f32_e32 v11, v136, v3
	v_fmac_f32_e32 v11, v135, v2
	v_mul_f32_e32 v2, v136, v2
	v_fma_f32 v2, v135, v3, -v2
	v_cvt_f32_f64_e32 v10, v[12:13]
	v_cvt_f64_f32_e32 v[12:13], v11
	v_cvt_f64_f32_e32 v[2:3], v2
	v_mov_b32_e32 v15, s4
	v_add_co_u32_e32 v14, vcc, s5, v0
	v_cvt_f32_f64_e32 v11, v[6:7]
	v_mul_f64 v[6:7], v[12:13], s[2:3]
	v_mul_f64 v[12:13], v[2:3], s[2:3]
	v_addc_co_u32_e32 v15, vcc, v1, v15, vcc
	ds_read2_b64 v[0:3], v146 offset0:42 offset1:177
	global_store_dwordx2 v[14:15], v[10:11], off
	s_mulk_i32 s1, 0xda08
	s_add_i32 s1, s6, s1
	v_cvt_f32_f64_e32 v6, v[6:7]
	s_waitcnt lgkmcnt(0)
	v_mul_f32_e32 v10, v132, v1
	v_fmac_f32_e32 v10, v131, v0
	v_mul_f32_e32 v0, v132, v0
	v_fma_f32 v0, v131, v1, -v0
	v_cvt_f64_f32_e32 v[10:11], v10
	v_cvt_f64_f32_e32 v[0:1], v0
	v_cvt_f32_f64_e32 v7, v[12:13]
	s_mulk_i32 s0, 0xda08
	v_mul_f64 v[10:11], v[10:11], s[2:3]
	v_mul_f64 v[0:1], v[0:1], s[2:3]
	v_mov_b32_e32 v13, s1
	v_add_co_u32_e32 v12, vcc, s0, v14
	v_addc_co_u32_e32 v13, vcc, v15, v13, vcc
	global_store_dwordx2 v[12:13], v[6:7], off
	v_cvt_f32_f64_e32 v10, v[10:11]
	v_cvt_f32_f64_e32 v11, v[0:1]
	v_mul_f32_e32 v0, v127, v9
	v_mul_f32_e32 v6, v127, v8
	v_fmac_f32_e32 v0, v126, v8
	v_fma_f32 v6, v126, v9, -v6
	v_cvt_f64_f32_e32 v[0:1], v0
	v_cvt_f64_f32_e32 v[14:15], v6
	ds_read2_b64 v[6:9], v145 offset0:14 offset1:149
	v_mov_b32_e32 v16, s4
	v_add_co_u32_e32 v12, vcc, s5, v12
	v_addc_co_u32_e32 v13, vcc, v13, v16, vcc
	global_store_dwordx2 v[12:13], v[10:11], off
	v_mul_f64 v[0:1], v[0:1], s[2:3]
	v_mul_f64 v[10:11], v[14:15], s[2:3]
	s_waitcnt lgkmcnt(0)
	v_mul_f32_e32 v14, v125, v7
	v_fmac_f32_e32 v14, v124, v6
	v_mul_f32_e32 v6, v125, v6
	v_fma_f32 v6, v124, v7, -v6
	v_cvt_f64_f32_e32 v[14:15], v14
	v_cvt_f64_f32_e32 v[6:7], v6
	v_cvt_f32_f64_e32 v0, v[0:1]
	v_cvt_f32_f64_e32 v1, v[10:11]
	v_mul_f64 v[10:11], v[14:15], s[2:3]
	v_mul_f64 v[6:7], v[6:7], s[2:3]
	v_mov_b32_e32 v14, s4
	v_add_co_u32_e32 v12, vcc, s5, v12
	v_addc_co_u32_e32 v13, vcc, v13, v14, vcc
	global_store_dwordx2 v[12:13], v[0:1], off
	v_mul_f32_e32 v0, v123, v3
	v_fmac_f32_e32 v0, v122, v2
	v_cvt_f32_f64_e32 v10, v[10:11]
	v_cvt_f32_f64_e32 v11, v[6:7]
	v_cvt_f64_f32_e32 v[6:7], v0
	v_mul_f32_e32 v0, v123, v2
	v_fma_f32 v0, v122, v3, -v0
	v_cvt_f64_f32_e32 v[14:15], v0
	ds_read2_b64 v[0:3], v144 offset0:84 offset1:219
	v_mov_b32_e32 v16, s1
	v_add_co_u32_e32 v12, vcc, s0, v12
	v_addc_co_u32_e32 v13, vcc, v13, v16, vcc
	global_store_dwordx2 v[12:13], v[10:11], off
	v_mul_f64 v[6:7], v[6:7], s[2:3]
	v_mul_f64 v[10:11], v[14:15], s[2:3]
	s_waitcnt lgkmcnt(0)
	v_mul_f32_e32 v14, v121, v1
	v_fmac_f32_e32 v14, v120, v0
	v_mul_f32_e32 v0, v121, v0
	v_fma_f32 v0, v120, v1, -v0
	v_cvt_f64_f32_e32 v[14:15], v14
	v_cvt_f64_f32_e32 v[0:1], v0
	v_cvt_f32_f64_e32 v6, v[6:7]
	v_cvt_f32_f64_e32 v7, v[10:11]
	v_mul_f64 v[10:11], v[14:15], s[2:3]
	v_mul_f64 v[0:1], v[0:1], s[2:3]
	v_mov_b32_e32 v14, s4
	v_add_co_u32_e32 v12, vcc, s5, v12
	v_addc_co_u32_e32 v13, vcc, v13, v14, vcc
	global_store_dwordx2 v[12:13], v[6:7], off
	v_mul_f32_e32 v6, v119, v8
	v_cvt_f32_f64_e32 v10, v[10:11]
	v_cvt_f32_f64_e32 v11, v[0:1]
	v_mul_f32_e32 v0, v119, v9
	v_fma_f32 v6, v118, v9, -v6
	v_fmac_f32_e32 v0, v118, v8
	v_cvt_f64_f32_e32 v[14:15], v6
	ds_read2_b64 v[6:9], v143 offset0:56 offset1:191
	v_mov_b32_e32 v16, s4
	v_cvt_f64_f32_e32 v[0:1], v0
	v_add_co_u32_e32 v12, vcc, s5, v12
	v_addc_co_u32_e32 v13, vcc, v13, v16, vcc
	global_store_dwordx2 v[12:13], v[10:11], off
	v_mul_f64 v[10:11], v[14:15], s[2:3]
	s_waitcnt lgkmcnt(0)
	v_mul_f32_e32 v14, v117, v7
	v_fmac_f32_e32 v14, v116, v6
	v_mul_f32_e32 v6, v117, v6
	v_mul_f64 v[0:1], v[0:1], s[2:3]
	v_fma_f32 v6, v116, v7, -v6
	v_cvt_f64_f32_e32 v[6:7], v6
	v_cvt_f64_f32_e32 v[14:15], v14
	v_add_co_u32_e32 v12, vcc, s0, v12
	v_mul_f64 v[6:7], v[6:7], s[2:3]
	v_cvt_f32_f64_e32 v0, v[0:1]
	v_cvt_f32_f64_e32 v1, v[10:11]
	v_mul_f64 v[10:11], v[14:15], s[2:3]
	v_mov_b32_e32 v14, s1
	v_addc_co_u32_e32 v13, vcc, v13, v14, vcc
	global_store_dwordx2 v[12:13], v[0:1], off
	v_cvt_f32_f64_e32 v1, v[6:7]
	v_mul_f32_e32 v6, v115, v3
	v_fmac_f32_e32 v6, v114, v2
	v_mul_f32_e32 v2, v115, v2
	v_fma_f32 v2, v114, v3, -v2
	v_cvt_f32_f64_e32 v0, v[10:11]
	v_cvt_f64_f32_e32 v[6:7], v6
	v_cvt_f64_f32_e32 v[2:3], v2
	v_mov_b32_e32 v11, s4
	v_add_co_u32_e32 v10, vcc, s5, v12
	v_addc_co_u32_e32 v11, vcc, v13, v11, vcc
	global_store_dwordx2 v[10:11], v[0:1], off
	v_mul_f64 v[0:1], v[6:7], s[2:3]
	v_mul_f64 v[2:3], v[2:3], s[2:3]
	v_mul_f32_e32 v6, v113, v5
	v_fmac_f32_e32 v6, v112, v4
	v_mul_f32_e32 v4, v113, v4
	v_fma_f32 v4, v112, v5, -v4
	v_cvt_f64_f32_e32 v[6:7], v6
	v_cvt_f64_f32_e32 v[4:5], v4
	v_cvt_f32_f64_e32 v0, v[0:1]
	v_cvt_f32_f64_e32 v1, v[2:3]
	v_mul_f64 v[2:3], v[6:7], s[2:3]
	v_mul_f64 v[4:5], v[4:5], s[2:3]
	v_mov_b32_e32 v7, s4
	v_add_co_u32_e32 v6, vcc, s5, v10
	v_addc_co_u32_e32 v7, vcc, v11, v7, vcc
	global_store_dwordx2 v[6:7], v[0:1], off
	v_cvt_f32_f64_e32 v0, v[2:3]
	v_cvt_f32_f64_e32 v1, v[4:5]
	v_mul_f32_e32 v2, v111, v9
	v_mul_f32_e32 v4, v111, v8
	v_fmac_f32_e32 v2, v110, v8
	v_fma_f32 v4, v110, v9, -v4
	v_cvt_f64_f32_e32 v[2:3], v2
	v_cvt_f64_f32_e32 v[4:5], v4
	ds_read_b64 v[8:9], v141 offset:15120
	v_mov_b32_e32 v10, s1
	v_add_co_u32_e32 v6, vcc, s0, v6
	v_addc_co_u32_e32 v7, vcc, v7, v10, vcc
	global_store_dwordx2 v[6:7], v[0:1], off
	v_mul_f64 v[0:1], v[2:3], s[2:3]
	v_mul_f64 v[2:3], v[4:5], s[2:3]
	s_waitcnt lgkmcnt(0)
	v_mul_f32_e32 v4, v109, v9
	v_fmac_f32_e32 v4, v108, v8
	v_mul_f32_e32 v8, v109, v8
	v_fma_f32 v8, v108, v9, -v8
	v_cvt_f64_f32_e32 v[4:5], v4
	v_cvt_f64_f32_e32 v[8:9], v8
	v_cvt_f32_f64_e32 v0, v[0:1]
	v_cvt_f32_f64_e32 v1, v[2:3]
	v_mul_f64 v[2:3], v[4:5], s[2:3]
	v_mul_f64 v[4:5], v[8:9], s[2:3]
	v_mov_b32_e32 v8, s4
	v_add_co_u32_e32 v6, vcc, s5, v6
	v_addc_co_u32_e32 v7, vcc, v7, v8, vcc
	global_store_dwordx2 v[6:7], v[0:1], off
	v_cvt_f32_f64_e32 v0, v[2:3]
	v_cvt_f32_f64_e32 v1, v[4:5]
	v_mov_b32_e32 v3, s4
	v_add_co_u32_e32 v2, vcc, s5, v6
	v_addc_co_u32_e32 v3, vcc, v7, v3, vcc
	global_store_dwordx2 v[2:3], v[0:1], off
.LBB0_2:
	s_endpgm
	.section	.rodata,"a",@progbits
	.p2align	6, 0x0
	.amdhsa_kernel bluestein_single_back_len2025_dim1_sp_op_CI_CI
		.amdhsa_group_segment_fixed_size 16200
		.amdhsa_private_segment_fixed_size 0
		.amdhsa_kernarg_size 104
		.amdhsa_user_sgpr_count 6
		.amdhsa_user_sgpr_private_segment_buffer 1
		.amdhsa_user_sgpr_dispatch_ptr 0
		.amdhsa_user_sgpr_queue_ptr 0
		.amdhsa_user_sgpr_kernarg_segment_ptr 1
		.amdhsa_user_sgpr_dispatch_id 0
		.amdhsa_user_sgpr_flat_scratch_init 0
		.amdhsa_user_sgpr_private_segment_size 0
		.amdhsa_uses_dynamic_stack 0
		.amdhsa_system_sgpr_private_segment_wavefront_offset 0
		.amdhsa_system_sgpr_workgroup_id_x 1
		.amdhsa_system_sgpr_workgroup_id_y 0
		.amdhsa_system_sgpr_workgroup_id_z 0
		.amdhsa_system_sgpr_workgroup_info 0
		.amdhsa_system_vgpr_workitem_id 0
		.amdhsa_next_free_vgpr 208
		.amdhsa_next_free_sgpr 20
		.amdhsa_reserve_vcc 1
		.amdhsa_reserve_flat_scratch 0
		.amdhsa_float_round_mode_32 0
		.amdhsa_float_round_mode_16_64 0
		.amdhsa_float_denorm_mode_32 3
		.amdhsa_float_denorm_mode_16_64 3
		.amdhsa_dx10_clamp 1
		.amdhsa_ieee_mode 1
		.amdhsa_fp16_overflow 0
		.amdhsa_exception_fp_ieee_invalid_op 0
		.amdhsa_exception_fp_denorm_src 0
		.amdhsa_exception_fp_ieee_div_zero 0
		.amdhsa_exception_fp_ieee_overflow 0
		.amdhsa_exception_fp_ieee_underflow 0
		.amdhsa_exception_fp_ieee_inexact 0
		.amdhsa_exception_int_div_zero 0
	.end_amdhsa_kernel
	.text
.Lfunc_end0:
	.size	bluestein_single_back_len2025_dim1_sp_op_CI_CI, .Lfunc_end0-bluestein_single_back_len2025_dim1_sp_op_CI_CI
                                        ; -- End function
	.section	.AMDGPU.csdata,"",@progbits
; Kernel info:
; codeLenInByte = 16296
; NumSgprs: 24
; NumVgprs: 208
; ScratchSize: 0
; MemoryBound: 0
; FloatMode: 240
; IeeeMode: 1
; LDSByteSize: 16200 bytes/workgroup (compile time only)
; SGPRBlocks: 2
; VGPRBlocks: 51
; NumSGPRsForWavesPerEU: 24
; NumVGPRsForWavesPerEU: 208
; Occupancy: 1
; WaveLimiterHint : 1
; COMPUTE_PGM_RSRC2:SCRATCH_EN: 0
; COMPUTE_PGM_RSRC2:USER_SGPR: 6
; COMPUTE_PGM_RSRC2:TRAP_HANDLER: 0
; COMPUTE_PGM_RSRC2:TGID_X_EN: 1
; COMPUTE_PGM_RSRC2:TGID_Y_EN: 0
; COMPUTE_PGM_RSRC2:TGID_Z_EN: 0
; COMPUTE_PGM_RSRC2:TIDIG_COMP_CNT: 0
	.type	__hip_cuid_cccaf33a20a39a19,@object ; @__hip_cuid_cccaf33a20a39a19
	.section	.bss,"aw",@nobits
	.globl	__hip_cuid_cccaf33a20a39a19
__hip_cuid_cccaf33a20a39a19:
	.byte	0                               ; 0x0
	.size	__hip_cuid_cccaf33a20a39a19, 1

	.ident	"AMD clang version 19.0.0git (https://github.com/RadeonOpenCompute/llvm-project roc-6.4.0 25133 c7fe45cf4b819c5991fe208aaa96edf142730f1d)"
	.section	".note.GNU-stack","",@progbits
	.addrsig
	.addrsig_sym __hip_cuid_cccaf33a20a39a19
	.amdgpu_metadata
---
amdhsa.kernels:
  - .args:
      - .actual_access:  read_only
        .address_space:  global
        .offset:         0
        .size:           8
        .value_kind:     global_buffer
      - .actual_access:  read_only
        .address_space:  global
        .offset:         8
        .size:           8
        .value_kind:     global_buffer
      - .actual_access:  read_only
        .address_space:  global
        .offset:         16
        .size:           8
        .value_kind:     global_buffer
      - .actual_access:  read_only
        .address_space:  global
        .offset:         24
        .size:           8
        .value_kind:     global_buffer
      - .actual_access:  read_only
        .address_space:  global
        .offset:         32
        .size:           8
        .value_kind:     global_buffer
      - .offset:         40
        .size:           8
        .value_kind:     by_value
      - .address_space:  global
        .offset:         48
        .size:           8
        .value_kind:     global_buffer
      - .address_space:  global
        .offset:         56
        .size:           8
        .value_kind:     global_buffer
      - .address_space:  global
        .offset:         64
        .size:           8
        .value_kind:     global_buffer
      - .address_space:  global
        .offset:         72
        .size:           8
        .value_kind:     global_buffer
      - .offset:         80
        .size:           4
        .value_kind:     by_value
      - .address_space:  global
        .offset:         88
        .size:           8
        .value_kind:     global_buffer
      - .address_space:  global
        .offset:         96
        .size:           8
        .value_kind:     global_buffer
    .group_segment_fixed_size: 16200
    .kernarg_segment_align: 8
    .kernarg_segment_size: 104
    .language:       OpenCL C
    .language_version:
      - 2
      - 0
    .max_flat_workgroup_size: 135
    .name:           bluestein_single_back_len2025_dim1_sp_op_CI_CI
    .private_segment_fixed_size: 0
    .sgpr_count:     24
    .sgpr_spill_count: 0
    .symbol:         bluestein_single_back_len2025_dim1_sp_op_CI_CI.kd
    .uniform_work_group_size: 1
    .uses_dynamic_stack: false
    .vgpr_count:     208
    .vgpr_spill_count: 0
    .wavefront_size: 64
amdhsa.target:   amdgcn-amd-amdhsa--gfx906
amdhsa.version:
  - 1
  - 2
...

	.end_amdgpu_metadata
